;; amdgpu-corpus repo=ROCm/aiter kind=harvested arch=n/a opt=n/a

/root/src/amdgpu-assembly/repos/ROCm__aiter/hsa/gfx950/fmoe/gelu/fmoe_fp16_pertokenFp8_g1u1_vs_gelu_1tg_32x320.co:	file format elf64-amdgpu

Disassembly of section .text:

0000000000002e00 <_ZN5aiter45fmoe_fp16_pertokenFp8_g1u1_vs_gelu_1tg_32x320E>:
	s_and_b32 s1, s1, 0xffff                                   // 000000002E00: 8601FF01 0000FFFF
	s_load_dwordx2 s[8:9], s[0:1], 0x0                         // 000000002E08: C0060200 00000000
	s_load_dwordx2 s[20:21], s[0:1], 0x10                      // 000000002E10: C0060500 00000010
	s_load_dwordx2 s[24:25], s[0:1], 0x20                      // 000000002E18: C0060600 00000020
	s_load_dwordx2 s[50:51], s[0:1], 0x30                      // 000000002E20: C0060C80 00000030
	s_load_dwordx2 s[12:13], s[0:1], 0x40                      // 000000002E28: C0060300 00000040
	s_load_dwordx2 s[28:29], s[0:1], 0x50                      // 000000002E30: C0060700 00000050
	s_load_dwordx2 s[32:33], s[0:1], 0x60                      // 000000002E38: C0060800 00000060
	s_load_dwordx2 s[16:17], s[0:1], 0x70                      // 000000002E40: C0060400 00000070
	s_load_dwordx2 s[36:37], s[0:1], 0x80                      // 000000002E48: C0060900 00000080
	s_load_dwordx2 s[44:45], s[0:1], 0x90                      // 000000002E50: C0060B00 00000090
	s_load_dwordx2 s[40:41], s[0:1], 0xa0                      // 000000002E58: C0060A00 000000A0
	s_load_dwordx2 s[46:47], s[0:1], 0xb0                      // 000000002E60: C0060B80 000000B0
	s_load_dword s64, s[0:1], 0xc0                             // 000000002E68: C0021000 000000C0
	s_load_dword s65, s[0:1], 0xd0                             // 000000002E70: C0021040 000000D0
	s_load_dword s66, s[0:1], 0xe0                             // 000000002E78: C0021080 000000E0
	s_load_dword s67, s[0:1], 0xf0                             // 000000002E80: C00210C0 000000F0
	s_load_dword s68, s[0:1], 0x100                            // 000000002E88: C0021100 00000100
	s_load_dword s69, s[0:1], 0x110                            // 000000002E90: C0021140 00000110
	s_load_dword s70, s[0:1], 0x120                            // 000000002E98: C0021180 00000120
	s_load_dword s71, s[0:1], 0x130                            // 000000002EA0: C00211C0 00000130
	s_load_dword s72, s[0:1], 0x140                            // 000000002EA8: C0021200 00000140
	s_load_dword s73, s[0:1], 0x150                            // 000000002EB0: C0021240 00000150
	s_load_dword s74, s[0:1], 0x160                            // 000000002EB8: C0021280 00000160
	s_load_dword s75, s[0:1], 0x170                            // 000000002EC0: C00212C0 00000170
	s_load_dword s76, s[0:1], 0x180                            // 000000002EC8: C0021300 00000180
	v_lshrrev_b32_e32 v1, 10, v0                               // 000000002ED0: 2002008A
	v_lshrrev_b32_e32 v2, 10, v1                               // 000000002ED4: 2004028A
	v_and_b32_e32 v2, 0x3ff, v2                                // 000000002ED8: 260404FF 000003FF
	v_and_b32_e32 v1, 0x3ff, v1                                // 000000002EE0: 260202FF 000003FF
	v_and_b32_e32 v0, 0x3ff, v0                                // 000000002EE8: 260000FF 000003FF
	v_lshrrev_b32_e32 v3, 6, v0                                // 000000002EF0: 20060086
	v_and_b32_e32 v0, 63, v0                                   // 000000002EF4: 260000BF
	s_mov_b32 s2, s2                                           // 000000002EF8: BE820002
	s_mov_b32 s3, s3                                           // 000000002EFC: BE830003
	s_mov_b32 s4, s4                                           // 000000002F00: BE840004
	v_readfirstlane_b32 s7, v3                                 // 000000002F04: 7E0E0503
	s_waitcnt lgkmcnt(0)                                       // 000000002F08: BF8CC07F
	s_and_b32 s51, s51, 0xffff                                 // 000000002F0C: 8633FF33 0000FFFF
	s_load_dword s50, s[50:51], 0x0                            // 000000002F14: C0020C99 00000000
	s_and_b32 s45, s45, 0xffff                                 // 000000002F1C: 862DFF2D 0000FFFF
	s_and_b32 s47, s47, 0xffff                                 // 000000002F24: 862FFF2F 0000FFFF
	s_and_b32 s9, s9, 0xffff                                   // 000000002F2C: 8609FF09 0000FFFF
	s_mul_i32 s60, s66, s68                                    // 000000002F34: 923C4442
	s_mul_i32 s61, s66, 4                                      // 000000002F38: 923D8442
	s_mov_b32 s22, s60                                         // 000000002F3C: BE96003C
	s_mov_b32 s26, -16                                         // 000000002F40: BE9A00D0
	s_mov_b32 s14, -16                                         // 000000002F44: BE8E00D0
	s_mov_b32 s42, -16                                         // 000000002F48: BEAA00D0
	s_mov_b32 s30, s61                                         // 000000002F4C: BE9E003D
	s_mov_b32 s34, 0x500                                       // 000000002F50: BEA200FF 00000500
	s_mov_b32 s38, 0x500                                       // 000000002F58: BEA600FF 00000500
	s_mov_b32 s18, -16                                         // 000000002F60: BE9200D0
	s_mov_b32 s23, 0x20000                                     // 000000002F64: BE9700FF 00020000
	s_mov_b32 s27, 0x20000                                     // 000000002F6C: BE9B00FF 00020000
	s_mov_b32 s15, 0x20000                                     // 000000002F74: BE8F00FF 00020000
	s_mov_b32 s43, 0x20000                                     // 000000002F7C: BEAB00FF 00020000
	s_mov_b32 s31, 0x20000                                     // 000000002F84: BE9F00FF 00020000
	s_mov_b32 s35, 0x20000                                     // 000000002F8C: BEA300FF 00020000
	s_mov_b32 s39, 0x20000                                     // 000000002F94: BEA700FF 00020000
	s_mov_b32 s19, 0x20000                                     // 000000002F9C: BE9300FF 00020000
	s_and_b32 s21, s21, 0xffff                                 // 000000002FA4: 8615FF15 0000FFFF
	s_and_b32 s25, s25, 0xffff                                 // 000000002FAC: 8619FF19 0000FFFF
	s_and_b32 s13, s13, 0xffff                                 // 000000002FB4: 860DFF0D 0000FFFF
	s_and_b32 s41, s41, 0xffff                                 // 000000002FBC: 8629FF29 0000FFFF
	s_and_b32 s29, s29, 0xffff                                 // 000000002FC4: 861DFF1D 0000FFFF
	s_and_b32 s33, s33, 0xffff                                 // 000000002FCC: 8621FF21 0000FFFF
	s_and_b32 s37, s37, 0xffff                                 // 000000002FD4: 8625FF25 0000FFFF
	s_and_b32 s17, s17, 0xffff                                 // 000000002FDC: 8611FF11 0000FFFF
	s_or_b32 s21, s21, 0x40000                                 // 000000002FE4: 8715FF15 00040000
	s_or_b32 s25, s25, 0x40000                                 // 000000002FEC: 8719FF19 00040000
	s_or_b32 s13, s13, 0x40000                                 // 000000002FF4: 870DFF0D 00040000
	s_or_b32 s41, s41, 0x40000                                 // 000000002FFC: 8729FF29 00040000
	s_or_b32 s29, s29, 0x40000                                 // 000000003004: 871DFF1D 00040000
	s_or_b32 s33, s33, 0x40000                                 // 00000000300C: 8721FF21 00040000
	s_or_b32 s37, s37, 0x40000                                 // 000000003014: 8725FF25 00040000
	s_or_b32 s17, s17, 0x40000                                 // 00000000301C: 8711FF11 00040000
	v_accvgpr_write_b32 a159, 0                                // 000000003024: D3D9409F 18000080
	v_mov_b32_e32 v231, 0                                      // 00000000302C: 7FCE0280
	s_waitcnt lgkmcnt(0)                                       // 000000003030: BF8CC07F
	s_mul_i32 s60, s3, 32                                      // 000000003034: 923CA003
	s_cmp_lt_i32 s60, s50                                      // 000000003038: BF04323C
	s_cbranch_scc0 label_1C37                                  // 00000000303C: BF841BA7
	s_mov_b32 s80, 0                                           // 000000003040: BED00080
	s_mov_b32 s81, s64                                         // 000000003044: BED10040
	s_mul_i32 s60, s3, 4                                       // 000000003048: 923C8403
	s_add_u32 s46, s60, s46                                    // 00000000304C: 802E2E3C
	s_addc_u32 s47, 0, s47                                     // 000000003050: 822F2F80
	s_load_dword s5, s[46:47], 0x0                             // 000000003054: C0020157 00000000
	s_mul_i32 s60, s3, 32                                      // 00000000305C: 923CA003
	s_mul_i32 s60, 4, s60                                      // 000000003060: 923C3C84
	v_and_b32_e32 v50, 15, v0                                  // 000000003064: 2664008F
	v_lshlrev_b32_e32 v50, 2, v50                              // 000000003068: 24646482
	v_add_u32_e32 v50, s60, v50                                // 00000000306C: 6864643C
	v_mov_b32_e32 v51, 0                                       // 000000003070: 7E660280
	global_load_dword v6, v50, s[44:45]                        // 000000003074: DC508000 062C0032
	v_add_u32_e32 v50, 64, v50                                 // 00000000307C: 686464C0
	global_load_dword v7, v50, s[44:45]                        // 000000003080: DC508000 072C0032
	s_mul_i32 s60, s3, 32                                      // 000000003088: 923CA003
	s_add_u32 s60, s7, s60                                     // 00000000308C: 803C3C07
	s_mul_i32 s60, 4, s60                                      // 000000003090: 923C3C84
	s_add_u32 s44, s60, s44                                    // 000000003094: 802C2C3C
	s_addc_u32 s45, 0, s45                                     // 000000003098: 822D2D80
	s_load_dword s82, s[44:45], 0x0                            // 00000000309C: C0021496 00000000
	s_load_dword s83, s[44:45], 0x10                           // 0000000030A4: C00214D6 00000010
	s_load_dword s84, s[44:45], 0x20                           // 0000000030AC: C0021516 00000020
	s_load_dword s85, s[44:45], 0x30                           // 0000000030B4: C0021556 00000030
	s_load_dword s86, s[44:45], 0x40                           // 0000000030BC: C0021596 00000040
	s_load_dword s87, s[44:45], 0x50                           // 0000000030C4: C00215D6 00000050
	s_load_dword s88, s[44:45], 0x60                           // 0000000030CC: C0021616 00000060
	s_load_dword s89, s[44:45], 0x70                           // 0000000030D4: C0021656 00000070
	s_waitcnt lgkmcnt(0)                                       // 0000000030DC: BF8CC07F
	v_lshlrev_b32_e32 v50, 2, v0                               // 0000000030E0: 24640082
	s_and_b32 s82, s82, 0xffffff                               // 0000000030E4: 8652FF52 00FFFFFF
	s_mul_i32 s60, s82, s68                                    // 0000000030EC: 923C4452
	v_add_u32_e64 v26, v50, s60                                // 0000000030F0: D134001A 00007932
	s_and_b32 s83, s83, 0xffffff                               // 0000000030F8: 8653FF53 00FFFFFF
	s_mul_i32 s60, s83, s68                                    // 000000003100: 923C4453
	v_add_u32_e64 v27, v50, s60                                // 000000003104: D134001B 00007932
	s_and_b32 s84, s84, 0xffffff                               // 00000000310C: 8654FF54 00FFFFFF
	s_mul_i32 s60, s84, s68                                    // 000000003114: 923C4454
	v_add_u32_e64 v28, v50, s60                                // 000000003118: D134001C 00007932
	s_and_b32 s85, s85, 0xffffff                               // 000000003120: 8655FF55 00FFFFFF
	s_mul_i32 s60, s85, s68                                    // 000000003128: 923C4455
	v_add_u32_e64 v29, v50, s60                                // 00000000312C: D134001D 00007932
	s_and_b32 s86, s86, 0xffffff                               // 000000003134: 8656FF56 00FFFFFF
	s_mul_i32 s60, s86, s68                                    // 00000000313C: 923C4456
	v_add_u32_e64 v30, v50, s60                                // 000000003140: D134001E 00007932
	s_and_b32 s87, s87, 0xffffff                               // 000000003148: 8657FF57 00FFFFFF
	s_mul_i32 s60, s87, s68                                    // 000000003150: 923C4457
	v_add_u32_e64 v31, v50, s60                                // 000000003154: D134001F 00007932
	s_and_b32 s88, s88, 0xffffff                               // 00000000315C: 8658FF58 00FFFFFF
	s_mul_i32 s60, s88, s68                                    // 000000003164: 923C4458
	v_add_u32_e64 v32, v50, s60                                // 000000003168: D1340020 00007932
	s_and_b32 s89, s89, 0xffffff                               // 000000003170: 8659FF59 00FFFFFF
	s_mul_i32 s60, s89, s68                                    // 000000003178: 923C4459
	v_add_u32_e64 v33, v50, s60                                // 00000000317C: D1340021 00007932
	v_lshlrev_b32_e32 v50, 2, v0                               // 000000003184: 24640082
	s_mul_i32 s60, s82, s71                                    // 000000003188: 923C4752
	v_add_u32_e64 v80, v50, s60                                // 00000000318C: D1340050 00007932
	v_mov_b32_e32 v81, 0                                       // 000000003194: 7EA20280
	s_mul_i32 s60, s83, s71                                    // 000000003198: 923C4753
	v_add_u32_e64 v82, v50, s60                                // 00000000319C: D1340052 00007932
	v_mov_b32_e32 v83, 0                                       // 0000000031A4: 7EA60280
	s_mul_i32 s60, s84, s71                                    // 0000000031A8: 923C4754
	v_add_u32_e64 v84, v50, s60                                // 0000000031AC: D1340054 00007932
	v_mov_b32_e32 v85, 0                                       // 0000000031B4: 7EAA0280
	s_mul_i32 s60, s85, s71                                    // 0000000031B8: 923C4755
	v_add_u32_e64 v86, v50, s60                                // 0000000031BC: D1340056 00007932
	v_mov_b32_e32 v87, 0                                       // 0000000031C4: 7EAE0280
	s_mul_i32 s60, s86, s71                                    // 0000000031C8: 923C4756
	v_add_u32_e64 v88, v50, s60                                // 0000000031CC: D1340058 00007932
	v_mov_b32_e32 v89, 0                                       // 0000000031D4: 7EB20280
	s_mul_i32 s60, s87, s71                                    // 0000000031D8: 923C4757
	v_add_u32_e64 v90, v50, s60                                // 0000000031DC: D134005A 00007932
	v_mov_b32_e32 v91, 0                                       // 0000000031E4: 7EB60280
	s_mul_i32 s60, s88, s71                                    // 0000000031E8: 923C4758
	v_add_u32_e64 v92, v50, s60                                // 0000000031EC: D134005C 00007932
	v_mov_b32_e32 v93, 0                                       // 0000000031F4: 7EBA0280
	s_mul_i32 s60, s89, s71                                    // 0000000031F8: 923C4759
	v_add_u32_e64 v94, v50, s60                                // 0000000031FC: D134005E 00007932
	v_mov_b32_e32 v95, 0                                       // 000000003204: 7EBE0280
	s_mul_i32 s60, s7, 0x820                                   // 000000003208: 923CFF07 00000820
	s_add_u32 s50, 0, s60                                      // 000000003210: 80323C80
	s_add_u32 s51, 0x2080, s50                                 // 000000003214: 803332FF 00002080
	v_lshrrev_b32_e32 v50, 4, v0                               // 00000000321C: 20640084
	v_lshlrev_b32_e32 v51, 2, v50                              // 000000003220: 24666482
	v_and_b32_e32 v50, 15, v0                                  // 000000003224: 2664008F
	v_lshrrev_b32_e32 v52, 2, v50                              // 000000003228: 20686482
	v_lshlrev_b32_e32 v52, 6, v52                              // 00000000322C: 24686886
	v_add_u32_e32 v51, v52, v51                                // 000000003230: 68666734
	v_and_b32_e32 v50, 3, v0                                   // 000000003234: 26640083
	v_mul_i32_i24_e32 v52, 0x208, v50                          // 000000003238: 0C6864FF 00000208
	v_add_u32_e32 v51, v52, v51                                // 000000003240: 68666734
	v_lshlrev_b32_e32 v2, 2, v51                               // 000000003244: 24046682
	s_mul_i32 s60, s2, 0x140                                   // 000000003248: 923CFF02 00000140
	s_mul_i32 s60, s60, s69                                    // 000000003250: 923C453C
	s_mul_i32 s61, s5, s72                                     // 000000003254: 923D4805
	s_add_u32 s60, s61, s60                                    // 000000003258: 803C3C3D
	s_add_u32 s24, s60, s24                                    // 00000000325C: 8018183C
	s_addc_u32 s25, 0, s25                                     // 000000003260: 82191980
	s_mul_i32 s60, s7, 16                                      // 000000003264: 923C9007
	s_mul_i32 s60, s60, s69                                    // 000000003268: 923C453C
	v_lshlrev_b32_e32 v34, 4, v0                               // 00000000326C: 24440084
	v_add_u32_e32 v34, s60, v34                                // 000000003270: 6844443C
	s_mul_i32 s60, 64, s69                                     // 000000003274: 923C45C0
	v_add_u32_e32 v35, s60, v34                                // 000000003278: 6846443C
	v_add_u32_e32 v36, s60, v35                                // 00000000327C: 6848463C
	v_add_u32_e32 v37, s60, v36                                // 000000003280: 684A483C
	v_add_u32_e32 v38, s60, v37                                // 000000003284: 684C4A3C
	s_mov_b32 s92, s24                                         // 000000003288: BEDC0018
	s_mov_b32 s93, s25                                         // 00000000328C: BEDD0019
	s_mov_b32 s94, s26                                         // 000000003290: BEDE001A
	s_mov_b32 s95, s27                                         // 000000003294: BEDF001B
	s_mul_i32 s60, s69, s65                                    // 000000003298: 923C4145
	s_add_u32 s92, s60, s92                                    // 00000000329C: 805C5C3C
	s_addc_u32 s93, 0, s93                                     // 0000000032A0: 825D5D80
	s_mul_i32 s60, s2, 0x1400                                  // 0000000032A4: 923CFF02 00001400
	s_mul_i32 s61, s5, s73                                     // 0000000032AC: 923D4905
	s_add_u32 s60, s61, s60                                    // 0000000032B0: 803C3C3D
	s_add_u32 s12, s60, s12                                    // 0000000032B4: 800C0C3C
	s_addc_u32 s13, 0, s13                                     // 0000000032B8: 820D0D80
	s_mul_i32 s60, s7, 16                                      // 0000000032BC: 923C9007
	s_mul_i32 s60, s60, s70                                    // 0000000032C0: 923C463C
	v_lshlrev_b32_e32 v39, 4, v0                               // 0000000032C4: 244E0084
	v_add_u32_e32 v39, s60, v39                                // 0000000032C8: 684E4E3C
	s_mul_i32 s60, 64, s70                                     // 0000000032CC: 923C46C0
	v_add_u32_e32 v40, s60, v39                                // 0000000032D0: 68504E3C
	v_add_u32_e32 v41, s60, v40                                // 0000000032D4: 6852503C
	v_add_u32_e32 v42, s60, v41                                // 0000000032D8: 6854523C
	s_mul_i32 s60, s70, 0x100                                  // 0000000032DC: 923CFF46 00000100
	s_mov_b32 s78, 0x400                                       // 0000000032E4: BECE00FF 00000400
	s_mul_i32 s61, s78, 4                                      // 0000000032EC: 923D844E
	s_sub_u32 s56, s60, s61                                    // 0000000032F0: 80B83D3C
	s_mul_i32 s60, s3, 32                                      // 0000000032F4: 923CA003
	s_mul_i32 s60, 4, s60                                      // 0000000032F8: 923C3C84
	s_add_u32 s40, s60, s40                                    // 0000000032FC: 8028283C
	s_addc_u32 s41, 0, s41                                     // 000000003300: 82292980
	v_and_b32_e32 v50, 15, v0                                  // 000000003304: 2664008F
	v_lshlrev_b32_e32 v8, 2, v50                               // 000000003308: 24106482
	v_add_u32_e32 v9, 64, v8                                   // 00000000330C: 681210C0
	v_lshrrev_b32_e32 v50, 4, v0                               // 000000003310: 20640084
	v_lshlrev_b32_e32 v51, 2, v50                              // 000000003314: 24666482
	v_and_b32_e32 v50, 15, v0                                  // 000000003318: 2664008F
	v_lshrrev_b32_e32 v52, 2, v50                              // 00000000331C: 20686482
	v_lshlrev_b32_e32 v52, 6, v52                              // 000000003320: 24686886
	v_add_u32_e32 v51, v52, v51                                // 000000003324: 68666734
	v_and_b32_e32 v50, 3, v0                                   // 000000003328: 26640083
	v_add_u32_e32 v51, v50, v51                                // 00000000332C: 68666732
	v_lshlrev_b32_e32 v10, 2, v51                              // 000000003330: 24146682
	v_add_u32_e32 v11, 0x400, v10                              // 000000003334: 681614FF 00000400
	s_mul_i32 s60, s7, 16                                      // 00000000333C: 923C9007
	s_mul_i32 s60, s60, 4                                      // 000000003340: 923C843C
	v_add_u32_e32 v10, s60, v10                                // 000000003344: 6814143C
	v_add_u32_e32 v11, s60, v11                                // 000000003348: 6816163C
	v_mov_b32_e32 v5, v10                                      // 00000000334C: 7E0A030A
	s_mul_i32 s60, s2, 0x140                                   // 000000003350: 923CFF02 00000140
	s_mul_i32 s60, s60, 4                                      // 000000003358: 923C843C
	s_mul_i32 s61, s5, s74                                     // 00000000335C: 923D4A05
	s_add_u32 s61, s61, s60                                    // 000000003360: 803D3C3D
	s_mul_i32 s62, s5, s76                                     // 000000003364: 923E4C05
	s_add_u32 s62, s62, s60                                    // 000000003368: 803E3C3E
	s_add_u32 s32, s61, s32                                    // 00000000336C: 8020203D
	s_addc_u32 s33, 0, s33                                     // 000000003370: 82212180
	s_add_u32 s36, s62, s36                                    // 000000003374: 8024243E
	s_addc_u32 s37, 0, s37                                     // 000000003378: 82252580
	s_mul_i32 s60, s5, s75                                     // 00000000337C: 923C4B05
	s_add_u32 s16, s60, s16                                    // 000000003380: 8010103C
	s_addc_u32 s17, 0, s17                                     // 000000003384: 82111180
	s_mov_b32 s57, 0x100                                       // 000000003388: BEB900FF 00000100
	s_mov_b32 s58, 0x1000                                      // 000000003390: BEBA00FF 00001000
	s_mov_b32 s79, 0x400                                       // 000000003398: BECF00FF 00000400
	s_mov_b32 s59, 0                                           // 0000000033A0: BEBB0080
	s_mov_b32 s90, s58                                         // 0000000033A4: BEDA003A
	s_mov_b32 s52, 0x7060302                                   // 0000000033A8: BEB400FF 07060302
	s_mov_b32 s53, 0x400                                       // 0000000033B0: BEB500FF 00000400
	s_mov_b32 s54, 0x40100                                     // 0000000033B8: BEB600FF 00040100
	s_mov_b32 s55, 0x4020100                                   // 0000000033C0: BEB700FF 04020100
	s_mov_b32 s6, 0x3fb8aa3b                                   // 0000000033C8: BE8600FF 3FB8AA3B
	s_mov_b32 s77, 0xbd92220c                                  // 0000000033D0: BECD00FF BD92220C
	s_mov_b32 m0, s50                                          // 0000000033D8: BEFC0032
	v_mov_b32_e32 v1, 0xbfcc4231                               // 0000000033DC: 7E0202FF BFCC4231
	v_mov_b32_e32 v44, 0xffff0000                              // 0000000033E4: 7E5802FF FFFF0000
	v_mov_b32_e32 v45, 0x7fff0000                              // 0000000033EC: 7E5A02FF 7FFF0000
	v_mov_b32_e32 v46, 0x7fff                                  // 0000000033F4: 7E5C02FF 00007FFF
	s_waitcnt vmcnt(0) expcnt(0) lgkmcnt(0)                    // 0000000033FC: BF8C0000
	v_and_b32_e32 v6, 0xffffff, v6                             // 000000003400: 260C0CFF 00FFFFFF
	v_and_b32_e32 v7, 0xffffff, v7                             // 000000003408: 260E0EFF 00FFFFFF
	v_lshlrev_b32_e32 v6, 2, v6                                // 000000003410: 240C0C82
	v_lshlrev_b32_e32 v7, 2, v7                                // 000000003414: 240E0E82
	buffer_load_dword v14, v6, s[28:31], 0 offen               // 000000003418: E0501000 80070E06
	buffer_load_dword v15, v7, s[28:31], 0 offen               // 000000003420: E0501000 80070F07
	buffer_load_dword v16, v10, s[32:35], 0 offen              // 000000003428: E0501000 8008100A
	buffer_load_dword v17, v11, s[32:35], 0 offen              // 000000003430: E0501000 8008110B
	s_mul_i32 s60, 4, s65                                      // 000000003438: 923C4184
	s_add_u32 s32, s60, s32                                    // 00000000343C: 8020203C
	s_addc_u32 s33, 0, s33                                     // 000000003440: 82212180
	buffer_load_dword v47, v10, s[32:35], 0 offen              // 000000003444: E0501000 80082F0A
	buffer_load_dword v48, v11, s[32:35], 0 offen              // 00000000344C: E0501000 8008300B
	buffer_load_dword v20, v8, s[40:43], 0 offen               // 000000003454: E0501000 800A1408
	buffer_load_dword v21, v9, s[40:43], 0 offen               // 00000000345C: E0501000 800A1509
	buffer_load_dword v26, s[20:23], 0 offen lds               // 000000003464: E0511000 8005001A
	s_add_u32 m0, 0x100, s50                                   // 00000000346C: 807C32FF 00000100
	buffer_load_dword v27, s[20:23], 0 offen lds               // 000000003474: E0511000 8005001B
	s_add_u32 m0, 0x200, s50                                   // 00000000347C: 807C32FF 00000200
	buffer_load_dword v28, s[20:23], 0 offen lds               // 000000003484: E0511000 8005001C
	s_add_u32 m0, 0x300, s50                                   // 00000000348C: 807C32FF 00000300
	buffer_load_dword v29, s[20:23], 0 offen lds               // 000000003494: E0511000 8005001D
	s_add_u32 m0, 0x400, s50                                   // 00000000349C: 807C32FF 00000400
	buffer_load_dword v30, s[20:23], 0 offen lds               // 0000000034A4: E0511000 8005001E
	s_add_u32 m0, 0x500, s50                                   // 0000000034AC: 807C32FF 00000500
	buffer_load_dword v31, s[20:23], 0 offen lds               // 0000000034B4: E0511000 8005001F
	s_add_u32 m0, 0x600, s50                                   // 0000000034BC: 807C32FF 00000600
	buffer_load_dword v32, s[20:23], 0 offen lds               // 0000000034C4: E0511000 80050020
	s_add_u32 m0, 0x700, s50                                   // 0000000034CC: 807C32FF 00000700
	buffer_load_dword v33, s[20:23], 0 offen lds               // 0000000034D4: E0511000 80050021
	s_add_u32 m0, 0, s51                                       // 0000000034DC: 807C3380
	s_add_u32 s20, s57, s20                                    // 0000000034E0: 80141439
	s_addc_u32 s21, 0, s21                                     // 0000000034E4: 82151580
	buffer_load_dwordx4 a[0:3], v34, s[24:27], 0 offen         // 0000000034E8: E05C1000 80860022
	buffer_load_dwordx4 a[4:7], v34, s[24:27], 0 offen offset:1024// 0000000034F0: E05C1400 80860422
	buffer_load_dwordx4 a[8:11], v34, s[24:27], 0 offen offset:2048// 0000000034F8: E05C1800 80860822
	buffer_load_dwordx4 a[12:15], v34, s[24:27], 0 offen offset:3072// 000000003500: E05C1C00 80860C22
	buffer_load_dwordx4 a[16:19], v35, s[24:27], 0 offen       // 000000003508: E05C1000 80861023
	buffer_load_dwordx4 a[20:23], v35, s[24:27], 0 offen offset:1024// 000000003510: E05C1400 80861423
	buffer_load_dwordx4 a[24:27], v35, s[24:27], 0 offen offset:2048// 000000003518: E05C1800 80861823
	buffer_load_dwordx4 a[28:31], v35, s[24:27], 0 offen offset:3072// 000000003520: E05C1C00 80861C23
	buffer_load_dwordx4 a[32:35], v36, s[24:27], 0 offen       // 000000003528: E05C1000 80862024
	buffer_load_dwordx4 a[36:39], v36, s[24:27], 0 offen offset:1024// 000000003530: E05C1400 80862424
	buffer_load_dwordx4 a[40:43], v36, s[24:27], 0 offen offset:2048// 000000003538: E05C1800 80862824
	buffer_load_dwordx4 a[44:47], v36, s[24:27], 0 offen offset:3072// 000000003540: E05C1C00 80862C24
	buffer_load_dwordx4 a[48:51], v37, s[24:27], 0 offen       // 000000003548: E05C1000 80863025
	buffer_load_dwordx4 a[52:55], v37, s[24:27], 0 offen offset:1024// 000000003550: E05C1400 80863425
	buffer_load_dwordx4 a[56:59], v37, s[24:27], 0 offen offset:2048// 000000003558: E05C1800 80863825
	buffer_load_dwordx4 a[60:63], v37, s[24:27], 0 offen offset:3072// 000000003560: E05C1C00 80863C25
	buffer_load_dwordx4 a[64:67], v38, s[24:27], 0 offen       // 000000003568: E05C1000 80864026
	buffer_load_dwordx4 a[68:71], v38, s[24:27], 0 offen offset:1024// 000000003570: E05C1400 80864426
	buffer_load_dwordx4 a[72:75], v38, s[24:27], 0 offen offset:2048// 000000003578: E05C1800 80864826
	buffer_load_dwordx4 a[76:79], v38, s[24:27], 0 offen offset:3072// 000000003580: E05C1C00 80864C26
	s_add_u32 s24, s58, s24                                    // 000000003588: 8018183A
	s_addc_u32 s25, 0, s25                                     // 00000000358C: 82191980
	v_mov_b32_e32 v128, 0                                      // 000000003590: 7F000280
	v_mov_b32_e32 v64, 0                                       // 000000003594: 7E800280
	v_mov_b32_e32 v129, 0                                      // 000000003598: 7F020280
	v_mov_b32_e32 v65, 0                                       // 00000000359C: 7E820280
	v_mov_b32_e32 v130, 0                                      // 0000000035A0: 7F040280
	v_mov_b32_e32 v66, 0                                       // 0000000035A4: 7E840280
	v_mov_b32_e32 v131, 0                                      // 0000000035A8: 7F060280
	v_mov_b32_e32 v67, 0                                       // 0000000035AC: 7E860280
	v_mov_b32_e32 v132, 0                                      // 0000000035B0: 7F080280
	v_mov_b32_e32 v68, 0                                       // 0000000035B4: 7E880280
	v_mov_b32_e32 v133, 0                                      // 0000000035B8: 7F0A0280
	v_mov_b32_e32 v69, 0                                       // 0000000035BC: 7E8A0280
	v_mov_b32_e32 v134, 0                                      // 0000000035C0: 7F0C0280
	v_mov_b32_e32 v70, 0                                       // 0000000035C4: 7E8C0280
	v_mov_b32_e32 v135, 0                                      // 0000000035C8: 7F0E0280
	v_mov_b32_e32 v71, 0                                       // 0000000035CC: 7E8E0280
	v_mov_b32_e32 v136, 0                                      // 0000000035D0: 7F100280
	v_mov_b32_e32 v72, 0                                       // 0000000035D4: 7E900280
	v_mov_b32_e32 v137, 0                                      // 0000000035D8: 7F120280
	v_mov_b32_e32 v73, 0                                       // 0000000035DC: 7E920280
	v_mov_b32_e32 v138, 0                                      // 0000000035E0: 7F140280
	v_mov_b32_e32 v74, 0                                       // 0000000035E4: 7E940280
	v_mov_b32_e32 v139, 0                                      // 0000000035E8: 7F160280
	v_mov_b32_e32 v75, 0                                       // 0000000035EC: 7E960280
	v_mov_b32_e32 v140, 0                                      // 0000000035F0: 7F180280
	v_mov_b32_e32 v76, 0                                       // 0000000035F4: 7E980280
	v_mov_b32_e32 v141, 0                                      // 0000000035F8: 7F1A0280
	v_mov_b32_e32 v77, 0                                       // 0000000035FC: 7E9A0280
	v_mov_b32_e32 v142, 0                                      // 000000003600: 7F1C0280
	v_mov_b32_e32 v78, 0                                       // 000000003604: 7E9C0280
	v_mov_b32_e32 v143, 0                                      // 000000003608: 7F1E0280
	v_mov_b32_e32 v79, 0                                       // 00000000360C: 7E9E0280
	v_mov_b32_e32 v144, 0                                      // 000000003610: 7F200280
	v_mov_b32_e32 v80, 0                                       // 000000003614: 7EA00280
	v_mov_b32_e32 v145, 0                                      // 000000003618: 7F220280
	v_mov_b32_e32 v81, 0                                       // 00000000361C: 7EA20280
	v_mov_b32_e32 v146, 0                                      // 000000003620: 7F240280
	v_mov_b32_e32 v82, 0                                       // 000000003624: 7EA40280
	v_mov_b32_e32 v147, 0                                      // 000000003628: 7F260280
	v_mov_b32_e32 v83, 0                                       // 00000000362C: 7EA60280
	v_mov_b32_e32 v148, 0                                      // 000000003630: 7F280280
	v_mov_b32_e32 v84, 0                                       // 000000003634: 7EA80280
	v_mov_b32_e32 v149, 0                                      // 000000003638: 7F2A0280
	v_mov_b32_e32 v85, 0                                       // 00000000363C: 7EAA0280
	v_mov_b32_e32 v150, 0                                      // 000000003640: 7F2C0280
	v_mov_b32_e32 v86, 0                                       // 000000003644: 7EAC0280
	v_mov_b32_e32 v151, 0                                      // 000000003648: 7F2E0280
	v_mov_b32_e32 v87, 0                                       // 00000000364C: 7EAE0280
	v_mov_b32_e32 v152, 0                                      // 000000003650: 7F300280
	v_mov_b32_e32 v88, 0                                       // 000000003654: 7EB00280
	v_mov_b32_e32 v153, 0                                      // 000000003658: 7F320280
	v_mov_b32_e32 v89, 0                                       // 00000000365C: 7EB20280
	v_mov_b32_e32 v154, 0                                      // 000000003660: 7F340280
	v_mov_b32_e32 v90, 0                                       // 000000003664: 7EB40280
	v_mov_b32_e32 v155, 0                                      // 000000003668: 7F360280
	v_mov_b32_e32 v91, 0                                       // 00000000366C: 7EB60280
	v_mov_b32_e32 v156, 0                                      // 000000003670: 7F380280
	v_mov_b32_e32 v92, 0                                       // 000000003674: 7EB80280
	v_mov_b32_e32 v157, 0                                      // 000000003678: 7F3A0280
	v_mov_b32_e32 v93, 0                                       // 00000000367C: 7EBA0280
	v_mov_b32_e32 v158, 0                                      // 000000003680: 7F3C0280
	v_mov_b32_e32 v94, 0                                       // 000000003684: 7EBC0280
	v_mov_b32_e32 v159, 0                                      // 000000003688: 7F3E0280
	v_mov_b32_e32 v95, 0                                       // 00000000368C: 7EBE0280
	v_mov_b32_e32 v160, 0                                      // 000000003690: 7F400280
	v_mov_b32_e32 v96, 0                                       // 000000003694: 7EC00280
	v_mov_b32_e32 v161, 0                                      // 000000003698: 7F420280
	v_mov_b32_e32 v97, 0                                       // 00000000369C: 7EC20280
	v_mov_b32_e32 v162, 0                                      // 0000000036A0: 7F440280
	v_mov_b32_e32 v98, 0                                       // 0000000036A4: 7EC40280
	v_mov_b32_e32 v163, 0                                      // 0000000036A8: 7F460280
	v_mov_b32_e32 v99, 0                                       // 0000000036AC: 7EC60280
	v_mov_b32_e32 v164, 0                                      // 0000000036B0: 7F480280
	v_mov_b32_e32 v100, 0                                      // 0000000036B4: 7EC80280
	v_mov_b32_e32 v165, 0                                      // 0000000036B8: 7F4A0280
	v_mov_b32_e32 v101, 0                                      // 0000000036BC: 7ECA0280
	v_mov_b32_e32 v166, 0                                      // 0000000036C0: 7F4C0280
	v_mov_b32_e32 v102, 0                                      // 0000000036C4: 7ECC0280
	v_mov_b32_e32 v167, 0                                      // 0000000036C8: 7F4E0280
	v_mov_b32_e32 v103, 0                                      // 0000000036CC: 7ECE0280
	v_lshrrev_b32_e32 v50, 4, v0                               // 0000000036D0: 20640084
	v_mul_i32_i24_e32 v3, 34, v50                              // 0000000036D4: 0C0664A2
	v_and_b32_e32 v50, 15, v0                                  // 0000000036D8: 2664008F
	v_mul_i32_i24_e32 v51, 2, v50                              // 0000000036DC: 0C666482
	v_add_u32_e32 v3, v51, v3                                  // 0000000036E0: 68060733
	s_mul_i32 s60, s7, 0x88                                    // 0000000036E4: 923CFF07 00000088
	v_add_u32_e32 v3, s60, v3                                  // 0000000036EC: 6806063C
	v_lshlrev_b32_e32 v3, 2, v3                                // 0000000036F0: 24060682
	v_lshrrev_b32_e32 v50, 1, v0                               // 0000000036F4: 20640081
	v_mul_i32_i24_e32 v4, 34, v50                              // 0000000036F8: 0C0864A2
	v_and_b32_e32 v51, 1, v0                                   // 0000000036FC: 26660081
	v_add_u32_e32 v4, v51, v4                                  // 000000003700: 68080933
	s_mul_i32 s60, s7, 2                                       // 000000003704: 923C8207
	v_add_u32_e32 v4, s60, v4                                  // 000000003708: 6808083C
	v_lshlrev_b32_e32 v4, 2, v4                                // 00000000370C: 24080882
	s_waitcnt vmcnt(20)                                        // 000000003710: BF8C4F74
	s_barrier                                                  // 000000003714: BF8A0000
	ds_read_b128 v[168:171], v2                                // 000000003718: D9FE0000 A8000002
	ds_read_b128 v[172:175], v2 offset:64                      // 000000003720: D9FE0040 AC000002
	ds_read_b128 v[176:179], v2 offset:128                     // 000000003728: D9FE0080 B0000002
	ds_read_b128 v[180:183], v2 offset:192                     // 000000003730: D9FE00C0 B4000002
	ds_read_b128 v[184:187], v2 offset:1024                    // 000000003738: D9FE0400 B8000002
	ds_read_b128 v[188:191], v2 offset:1088                    // 000000003740: D9FE0440 BC000002
	ds_read_b128 v[192:195], v2 offset:1152                    // 000000003748: D9FE0480 C0000002
	ds_read_b128 v[196:199], v2 offset:1216                    // 000000003750: D9FE04C0 C4000002
	s_cmp_lt_i32 s7, 2                                         // 000000003758: BF048207
	s_cbranch_scc0 label_0EA0                                  // 00000000375C: BF840C48

0000000000003760 <label_0258>:
	s_waitcnt vmcnt(12) lgkmcnt(0)                             // 000000003760: BF8C007C
	s_barrier                                                  // 000000003764: BF8A0000
	v_mfma_f32_16x16x32_fp8_fp8 v[128:131], a[0:1], v[168:169], v[128:131]// 000000003768: D3F30080 0E035100
	v_mfma_f32_16x16x32_fp8_fp8 v[128:131], a[2:3], v[170:171], v[128:131]// 000000003770: D3F30080 0E035502
	buffer_load_dwordx4 a[80:83], v34, s[92:95], 0 offen       // 000000003778: E05C1000 80975022
	v_mfma_f32_16x16x32_fp8_fp8 v[128:131], a[4:5], v[172:173], v[128:131]// 000000003780: D3F30080 0E035904
	v_mfma_f32_16x16x32_fp8_fp8 v[128:131], a[6:7], v[174:175], v[128:131]// 000000003788: D3F30080 0E035D06
	buffer_load_dword v26, s[20:23], 0 offen lds               // 000000003790: E0511000 8005001A
	s_add_u32 m0, 0x100, s51                                   // 000000003798: 807C33FF 00000100
	v_mfma_f32_16x16x32_fp8_fp8 v[128:131], a[8:9], v[176:177], v[128:131]// 0000000037A0: D3F30080 0E036108
	v_mfma_f32_16x16x32_fp8_fp8 v[128:131], a[10:11], v[178:179], v[128:131]// 0000000037A8: D3F30080 0E03650A
	buffer_load_dwordx4 a[84:87], v34, s[92:95], 0 offen offset:1024// 0000000037B0: E05C1400 80975422
	v_mfma_f32_16x16x32_fp8_fp8 v[128:131], a[12:13], v[180:181], v[128:131]// 0000000037B8: D3F30080 0E03690C
	v_mfma_f32_16x16x32_fp8_fp8 v[128:131], a[14:15], v[182:183], v[128:131]// 0000000037C0: D3F30080 0E036D0E
	buffer_load_dword v27, s[20:23], 0 offen lds               // 0000000037C8: E0511000 8005001B
	s_add_u32 m0, 0x200, s51                                   // 0000000037D0: 807C33FF 00000200
	v_mfma_f32_16x16x32_fp8_fp8 v[132:135], a[0:1], v[184:185], v[132:135]// 0000000037D8: D3F30084 0E137100
	v_mfma_f32_16x16x32_fp8_fp8 v[132:135], a[2:3], v[186:187], v[132:135]// 0000000037E0: D3F30084 0E137502
	buffer_load_dwordx4 a[88:91], v34, s[92:95], 0 offen offset:2048// 0000000037E8: E05C1800 80975822
	v_mfma_f32_16x16x32_fp8_fp8 v[132:135], a[4:5], v[188:189], v[132:135]// 0000000037F0: D3F30084 0E137904
	v_mfma_f32_16x16x32_fp8_fp8 v[132:135], a[6:7], v[190:191], v[132:135]// 0000000037F8: D3F30084 0E137D06
	buffer_load_dword v28, s[20:23], 0 offen lds               // 000000003800: E0511000 8005001C
	s_add_u32 m0, 0x300, s51                                   // 000000003808: 807C33FF 00000300
	v_mfma_f32_16x16x32_fp8_fp8 v[132:135], a[8:9], v[192:193], v[132:135]// 000000003810: D3F30084 0E138108
	v_mfma_f32_16x16x32_fp8_fp8 v[132:135], a[10:11], v[194:195], v[132:135]// 000000003818: D3F30084 0E13850A
	buffer_load_dwordx4 a[92:95], v34, s[92:95], 0 offen offset:3072// 000000003820: E05C1C00 80975C22
	v_mfma_f32_16x16x32_fp8_fp8 v[132:135], a[12:13], v[196:197], v[132:135]// 000000003828: D3F30084 0E13890C
	v_mfma_f32_16x16x32_fp8_fp8 v[132:135], a[14:15], v[198:199], v[132:135]// 000000003830: D3F30084 0E138D0E
	buffer_load_dword v29, s[20:23], 0 offen lds               // 000000003838: E0511000 8005001D
	s_add_u32 m0, 0x400, s51                                   // 000000003840: 807C33FF 00000400
	v_mfma_f32_16x16x32_fp8_fp8 v[136:139], a[16:17], v[168:169], v[136:139]// 000000003848: D3F30088 0E235110
	v_mfma_f32_16x16x32_fp8_fp8 v[136:139], a[18:19], v[170:171], v[136:139]// 000000003850: D3F30088 0E235512
	buffer_load_dwordx4 a[96:99], v35, s[92:95], 0 offen       // 000000003858: E05C1000 80976023
	v_mfma_f32_16x16x32_fp8_fp8 v[136:139], a[20:21], v[172:173], v[136:139]// 000000003860: D3F30088 0E235914
	v_mfma_f32_16x16x32_fp8_fp8 v[136:139], a[22:23], v[174:175], v[136:139]// 000000003868: D3F30088 0E235D16
	buffer_load_dword v30, s[20:23], 0 offen lds               // 000000003870: E0511000 8005001E
	s_add_u32 m0, 0x500, s51                                   // 000000003878: 807C33FF 00000500
	v_mfma_f32_16x16x32_fp8_fp8 v[136:139], a[24:25], v[176:177], v[136:139]// 000000003880: D3F30088 0E236118
	v_mfma_f32_16x16x32_fp8_fp8 v[136:139], a[26:27], v[178:179], v[136:139]// 000000003888: D3F30088 0E23651A
	buffer_load_dwordx4 a[100:103], v35, s[92:95], 0 offen offset:1024// 000000003890: E05C1400 80976423
	v_mfma_f32_16x16x32_fp8_fp8 v[136:139], a[28:29], v[180:181], v[136:139]// 000000003898: D3F30088 0E23691C
	v_mfma_f32_16x16x32_fp8_fp8 v[136:139], a[30:31], v[182:183], v[136:139]// 0000000038A0: D3F30088 0E236D1E
	buffer_load_dword v31, s[20:23], 0 offen lds               // 0000000038A8: E0511000 8005001F
	s_add_u32 m0, 0x600, s51                                   // 0000000038B0: 807C33FF 00000600
	v_mfma_f32_16x16x32_fp8_fp8 v[140:143], a[16:17], v[184:185], v[140:143]// 0000000038B8: D3F3008C 0E337110
	v_mfma_f32_16x16x32_fp8_fp8 v[140:143], a[18:19], v[186:187], v[140:143]// 0000000038C0: D3F3008C 0E337512
	buffer_load_dwordx4 a[104:107], v35, s[92:95], 0 offen offset:2048// 0000000038C8: E05C1800 80976823
	v_mfma_f32_16x16x32_fp8_fp8 v[140:143], a[20:21], v[188:189], v[140:143]// 0000000038D0: D3F3008C 0E337914
	v_mfma_f32_16x16x32_fp8_fp8 v[140:143], a[22:23], v[190:191], v[140:143]// 0000000038D8: D3F3008C 0E337D16
	buffer_load_dword v32, s[20:23], 0 offen lds               // 0000000038E0: E0511000 80050020
	s_add_u32 m0, 0x700, s51                                   // 0000000038E8: 807C33FF 00000700
	v_mfma_f32_16x16x32_fp8_fp8 v[140:143], a[24:25], v[192:193], v[140:143]// 0000000038F0: D3F3008C 0E338118
	v_mfma_f32_16x16x32_fp8_fp8 v[140:143], a[26:27], v[194:195], v[140:143]// 0000000038F8: D3F3008C 0E33851A
	buffer_load_dwordx4 a[108:111], v35, s[92:95], 0 offen offset:3072// 000000003900: E05C1C00 80976C23
	v_mfma_f32_16x16x32_fp8_fp8 v[140:143], a[28:29], v[196:197], v[140:143]// 000000003908: D3F3008C 0E33891C
	v_mfma_f32_16x16x32_fp8_fp8 v[140:143], a[30:31], v[198:199], v[140:143]// 000000003910: D3F3008C 0E338D1E
	buffer_load_dword v33, s[20:23], 0 offen lds               // 000000003918: E0511000 80050021
	s_add_u32 m0, 0, s50                                       // 000000003920: 807C3280
	s_waitcnt vmcnt(24)                                        // 000000003924: BF8C4F78
	v_mfma_f32_16x16x32_fp8_fp8 v[144:147], a[32:33], v[168:169], v[144:147]// 000000003928: D3F30090 0E435120
	v_mfma_f32_16x16x32_fp8_fp8 v[144:147], a[34:35], v[170:171], v[144:147]// 000000003930: D3F30090 0E435522
	buffer_load_dwordx4 a[112:115], v36, s[92:95], 0 offen     // 000000003938: E05C1000 80977024
	v_mfma_f32_16x16x32_fp8_fp8 v[144:147], a[36:37], v[172:173], v[144:147]// 000000003940: D3F30090 0E435924
	v_mfma_f32_16x16x32_fp8_fp8 v[144:147], a[38:39], v[174:175], v[144:147]// 000000003948: D3F30090 0E435D26
	v_mfma_f32_16x16x32_fp8_fp8 v[144:147], a[40:41], v[176:177], v[144:147]// 000000003950: D3F30090 0E436128
	v_mfma_f32_16x16x32_fp8_fp8 v[144:147], a[42:43], v[178:179], v[144:147]// 000000003958: D3F30090 0E43652A
	buffer_load_dwordx4 a[116:119], v36, s[92:95], 0 offen offset:1024// 000000003960: E05C1400 80977424
	v_mfma_f32_16x16x32_fp8_fp8 v[144:147], a[44:45], v[180:181], v[144:147]// 000000003968: D3F30090 0E43692C
	v_mfma_f32_16x16x32_fp8_fp8 v[144:147], a[46:47], v[182:183], v[144:147]// 000000003970: D3F30090 0E436D2E
	v_mfma_f32_16x16x32_fp8_fp8 v[148:151], a[32:33], v[184:185], v[148:151]// 000000003978: D3F30094 0E537120
	v_mfma_f32_16x16x32_fp8_fp8 v[148:151], a[34:35], v[186:187], v[148:151]// 000000003980: D3F30094 0E537522
	buffer_load_dwordx4 a[120:123], v36, s[92:95], 0 offen offset:2048// 000000003988: E05C1800 80977824
	v_mfma_f32_16x16x32_fp8_fp8 v[148:151], a[36:37], v[188:189], v[148:151]// 000000003990: D3F30094 0E537924
	v_mfma_f32_16x16x32_fp8_fp8 v[148:151], a[38:39], v[190:191], v[148:151]// 000000003998: D3F30094 0E537D26
	v_mfma_f32_16x16x32_fp8_fp8 v[148:151], a[40:41], v[192:193], v[148:151]// 0000000039A0: D3F30094 0E538128
	v_mfma_f32_16x16x32_fp8_fp8 v[148:151], a[42:43], v[194:195], v[148:151]// 0000000039A8: D3F30094 0E53852A
	buffer_load_dwordx4 a[124:127], v36, s[92:95], 0 offen offset:3072// 0000000039B0: E05C1C00 80977C24
	v_mfma_f32_16x16x32_fp8_fp8 v[148:151], a[44:45], v[196:197], v[148:151]// 0000000039B8: D3F30094 0E53892C
	v_mfma_f32_16x16x32_fp8_fp8 v[148:151], a[46:47], v[198:199], v[148:151]// 0000000039C0: D3F30094 0E538D2E
	s_waitcnt vmcnt(24)                                        // 0000000039C8: BF8C4F78
	v_mfma_f32_16x16x32_fp8_fp8 v[152:155], a[48:49], v[168:169], v[152:155]// 0000000039CC: D3F30098 0E635130
	v_mfma_f32_16x16x32_fp8_fp8 v[152:155], a[50:51], v[170:171], v[152:155]// 0000000039D4: D3F30098 0E635532
	buffer_load_dwordx4 a[128:131], v37, s[92:95], 0 offen     // 0000000039DC: E05C1000 80978025
	v_mfma_f32_16x16x32_fp8_fp8 v[152:155], a[52:53], v[172:173], v[152:155]// 0000000039E4: D3F30098 0E635934
	v_mfma_f32_16x16x32_fp8_fp8 v[152:155], a[54:55], v[174:175], v[152:155]// 0000000039EC: D3F30098 0E635D36
	v_mfma_f32_16x16x32_fp8_fp8 v[152:155], a[56:57], v[176:177], v[152:155]// 0000000039F4: D3F30098 0E636138
	v_mfma_f32_16x16x32_fp8_fp8 v[152:155], a[58:59], v[178:179], v[152:155]// 0000000039FC: D3F30098 0E63653A
	buffer_load_dwordx4 a[132:135], v37, s[92:95], 0 offen offset:1024// 000000003A04: E05C1400 80978425
	v_mfma_f32_16x16x32_fp8_fp8 v[152:155], a[60:61], v[180:181], v[152:155]// 000000003A0C: D3F30098 0E63693C
	v_mfma_f32_16x16x32_fp8_fp8 v[152:155], a[62:63], v[182:183], v[152:155]// 000000003A14: D3F30098 0E636D3E
	v_mfma_f32_16x16x32_fp8_fp8 v[156:159], a[48:49], v[184:185], v[156:159]// 000000003A1C: D3F3009C 0E737130
	v_mfma_f32_16x16x32_fp8_fp8 v[156:159], a[50:51], v[186:187], v[156:159]// 000000003A24: D3F3009C 0E737532
	buffer_load_dwordx4 a[136:139], v37, s[92:95], 0 offen offset:2048// 000000003A2C: E05C1800 80978825
	v_mfma_f32_16x16x32_fp8_fp8 v[156:159], a[52:53], v[188:189], v[156:159]// 000000003A34: D3F3009C 0E737934
	v_mfma_f32_16x16x32_fp8_fp8 v[156:159], a[54:55], v[190:191], v[156:159]// 000000003A3C: D3F3009C 0E737D36
	v_mfma_f32_16x16x32_fp8_fp8 v[156:159], a[56:57], v[192:193], v[156:159]// 000000003A44: D3F3009C 0E738138
	v_mfma_f32_16x16x32_fp8_fp8 v[156:159], a[58:59], v[194:195], v[156:159]// 000000003A4C: D3F3009C 0E73853A
	buffer_load_dwordx4 a[140:143], v37, s[92:95], 0 offen offset:3072// 000000003A54: E05C1C00 80978C25
	v_mfma_f32_16x16x32_fp8_fp8 v[156:159], a[60:61], v[196:197], v[156:159]// 000000003A5C: D3F3009C 0E73893C
	v_mfma_f32_16x16x32_fp8_fp8 v[156:159], a[62:63], v[198:199], v[156:159]// 000000003A64: D3F3009C 0E738D3E
	s_waitcnt vmcnt(24)                                        // 000000003A6C: BF8C4F78
	v_mfma_f32_16x16x32_fp8_fp8 v[160:163], a[64:65], v[168:169], v[160:163]// 000000003A70: D3F300A0 0E835140
	v_mfma_f32_16x16x32_fp8_fp8 v[160:163], a[66:67], v[170:171], v[160:163]// 000000003A78: D3F300A0 0E835542
	buffer_load_dwordx4 a[144:147], v38, s[92:95], 0 offen     // 000000003A80: E05C1000 80979026
	v_mfma_f32_16x16x32_fp8_fp8 v[160:163], a[68:69], v[172:173], v[160:163]// 000000003A88: D3F300A0 0E835944
	v_mfma_f32_16x16x32_fp8_fp8 v[160:163], a[70:71], v[174:175], v[160:163]// 000000003A90: D3F300A0 0E835D46
	v_mfma_f32_16x16x32_fp8_fp8 v[160:163], a[72:73], v[176:177], v[160:163]// 000000003A98: D3F300A0 0E836148
	v_mfma_f32_16x16x32_fp8_fp8 v[160:163], a[74:75], v[178:179], v[160:163]// 000000003AA0: D3F300A0 0E83654A
	buffer_load_dwordx4 a[148:151], v38, s[92:95], 0 offen offset:1024// 000000003AA8: E05C1400 80979426
	v_mfma_f32_16x16x32_fp8_fp8 v[160:163], a[76:77], v[180:181], v[160:163]// 000000003AB0: D3F300A0 0E83694C
	v_mfma_f32_16x16x32_fp8_fp8 v[160:163], a[78:79], v[182:183], v[160:163]// 000000003AB8: D3F300A0 0E836D4E
	v_mfma_f32_16x16x32_fp8_fp8 v[164:167], a[64:65], v[184:185], v[164:167]// 000000003AC0: D3F300A4 0E937140
	v_mfma_f32_16x16x32_fp8_fp8 v[164:167], a[66:67], v[186:187], v[164:167]// 000000003AC8: D3F300A4 0E937542
	buffer_load_dwordx4 a[152:155], v38, s[92:95], 0 offen offset:2048// 000000003AD0: E05C1800 80979826
	v_mfma_f32_16x16x32_fp8_fp8 v[164:167], a[68:69], v[188:189], v[164:167]// 000000003AD8: D3F300A4 0E937944
	v_mfma_f32_16x16x32_fp8_fp8 v[164:167], a[70:71], v[190:191], v[164:167]// 000000003AE0: D3F300A4 0E937D46
	v_mfma_f32_16x16x32_fp8_fp8 v[164:167], a[72:73], v[192:193], v[164:167]// 000000003AE8: D3F300A4 0E938148
	v_mfma_f32_16x16x32_fp8_fp8 v[164:167], a[74:75], v[194:195], v[164:167]// 000000003AF0: D3F300A4 0E93854A
	buffer_load_dwordx4 a[156:159], v38, s[92:95], 0 offen offset:3072// 000000003AF8: E05C1C00 80979C26
	v_mfma_f32_16x16x32_fp8_fp8 v[164:167], a[76:77], v[196:197], v[164:167]// 000000003B00: D3F300A4 0E93894C
	v_mfma_f32_16x16x32_fp8_fp8 v[164:167], a[78:79], v[198:199], v[164:167]// 000000003B08: D3F300A4 0E938D4E
	s_waitcnt vmcnt(12)                                        // 000000003B10: BF8C0F7C
	s_barrier                                                  // 000000003B14: BF8A0000
	v_mfma_f32_16x16x32_fp8_fp8 v[64:67], a[80:81], v[168:169], v[64:67]// 000000003B18: D3F30040 0D035150
	v_mfma_f32_16x16x32_fp8_fp8 v[64:67], a[82:83], v[170:171], v[64:67]// 000000003B20: D3F30040 0D035552
	buffer_load_dwordx4 a[0:3], v34, s[24:27], 0 offen         // 000000003B28: E05C1000 80860022
	v_mfma_f32_16x16x32_fp8_fp8 v[64:67], a[84:85], v[172:173], v[64:67]// 000000003B30: D3F30040 0D035954
	v_mfma_f32_16x16x32_fp8_fp8 v[64:67], a[86:87], v[174:175], v[64:67]// 000000003B38: D3F30040 0D035D56
	v_mfma_f32_16x16x32_fp8_fp8 v[64:67], a[88:89], v[176:177], v[64:67]// 000000003B40: D3F30040 0D036158
	v_mfma_f32_16x16x32_fp8_fp8 v[64:67], a[90:91], v[178:179], v[64:67]// 000000003B48: D3F30040 0D03655A
	buffer_load_dwordx4 a[4:7], v34, s[24:27], 0 offen offset:1024// 000000003B50: E05C1400 80860422
	v_mfma_f32_16x16x32_fp8_fp8 v[64:67], a[92:93], v[180:181], v[64:67]// 000000003B58: D3F30040 0D03695C
	v_mfma_f32_16x16x32_fp8_fp8 v[64:67], a[94:95], v[182:183], v[64:67]// 000000003B60: D3F30040 0D036D5E
	v_mfma_f32_16x16x32_fp8_fp8 v[68:71], a[80:81], v[184:185], v[68:71]// 000000003B68: D3F30044 0D137150
	v_mfma_f32_16x16x32_fp8_fp8 v[68:71], a[82:83], v[186:187], v[68:71]// 000000003B70: D3F30044 0D137552
	buffer_load_dwordx4 a[8:11], v34, s[24:27], 0 offen offset:2048// 000000003B78: E05C1800 80860822
	v_mfma_f32_16x16x32_fp8_fp8 v[68:71], a[84:85], v[188:189], v[68:71]// 000000003B80: D3F30044 0D137954
	v_mfma_f32_16x16x32_fp8_fp8 v[68:71], a[86:87], v[190:191], v[68:71]// 000000003B88: D3F30044 0D137D56
	v_mfma_f32_16x16x32_fp8_fp8 v[68:71], a[88:89], v[192:193], v[68:71]// 000000003B90: D3F30044 0D138158
	v_mfma_f32_16x16x32_fp8_fp8 v[68:71], a[90:91], v[194:195], v[68:71]// 000000003B98: D3F30044 0D13855A
	buffer_load_dwordx4 a[12:15], v34, s[24:27], 0 offen offset:3072// 000000003BA0: E05C1C00 80860C22
	v_mfma_f32_16x16x32_fp8_fp8 v[68:71], a[92:93], v[196:197], v[68:71]// 000000003BA8: D3F30044 0D13895C
	v_mfma_f32_16x16x32_fp8_fp8 v[68:71], a[94:95], v[198:199], v[68:71]// 000000003BB0: D3F30044 0D138D5E
	v_mfma_f32_16x16x32_fp8_fp8 v[72:75], a[96:97], v[168:169], v[72:75]// 000000003BB8: D3F30048 0D235160
	v_mfma_f32_16x16x32_fp8_fp8 v[72:75], a[98:99], v[170:171], v[72:75]// 000000003BC0: D3F30048 0D235562
	buffer_load_dwordx4 a[16:19], v35, s[24:27], 0 offen       // 000000003BC8: E05C1000 80861023
	v_mfma_f32_16x16x32_fp8_fp8 v[72:75], a[100:101], v[172:173], v[72:75]// 000000003BD0: D3F30048 0D235964
	v_mfma_f32_16x16x32_fp8_fp8 v[72:75], a[102:103], v[174:175], v[72:75]// 000000003BD8: D3F30048 0D235D66
	v_mfma_f32_16x16x32_fp8_fp8 v[72:75], a[104:105], v[176:177], v[72:75]// 000000003BE0: D3F30048 0D236168
	v_mfma_f32_16x16x32_fp8_fp8 v[72:75], a[106:107], v[178:179], v[72:75]// 000000003BE8: D3F30048 0D23656A
	buffer_load_dwordx4 a[20:23], v35, s[24:27], 0 offen offset:1024// 000000003BF0: E05C1400 80861423
	v_mfma_f32_16x16x32_fp8_fp8 v[72:75], a[108:109], v[180:181], v[72:75]// 000000003BF8: D3F30048 0D23696C
	v_mfma_f32_16x16x32_fp8_fp8 v[72:75], a[110:111], v[182:183], v[72:75]// 000000003C00: D3F30048 0D236D6E
	v_mfma_f32_16x16x32_fp8_fp8 v[76:79], a[96:97], v[184:185], v[76:79]// 000000003C08: D3F3004C 0D337160
	v_mfma_f32_16x16x32_fp8_fp8 v[76:79], a[98:99], v[186:187], v[76:79]// 000000003C10: D3F3004C 0D337562
	buffer_load_dwordx4 a[24:27], v35, s[24:27], 0 offen offset:2048// 000000003C18: E05C1800 80861823
	v_mfma_f32_16x16x32_fp8_fp8 v[76:79], a[100:101], v[188:189], v[76:79]// 000000003C20: D3F3004C 0D337964
	v_mfma_f32_16x16x32_fp8_fp8 v[76:79], a[102:103], v[190:191], v[76:79]// 000000003C28: D3F3004C 0D337D66
	v_mfma_f32_16x16x32_fp8_fp8 v[76:79], a[104:105], v[192:193], v[76:79]// 000000003C30: D3F3004C 0D338168
	v_mfma_f32_16x16x32_fp8_fp8 v[76:79], a[106:107], v[194:195], v[76:79]// 000000003C38: D3F3004C 0D33856A
	buffer_load_dwordx4 a[28:31], v35, s[24:27], 0 offen offset:3072// 000000003C40: E05C1C00 80861C23
	v_mfma_f32_16x16x32_fp8_fp8 v[76:79], a[108:109], v[196:197], v[76:79]// 000000003C48: D3F3004C 0D33896C
	v_mfma_f32_16x16x32_fp8_fp8 v[76:79], a[110:111], v[198:199], v[76:79]// 000000003C50: D3F3004C 0D338D6E
	s_waitcnt vmcnt(16)                                        // 000000003C58: BF8C4F70
	v_mfma_f32_16x16x32_fp8_fp8 v[80:83], a[112:113], v[168:169], v[80:83]// 000000003C5C: D3F30050 0D435170
	v_mfma_f32_16x16x32_fp8_fp8 v[80:83], a[114:115], v[170:171], v[80:83]// 000000003C64: D3F30050 0D435572
	buffer_load_dwordx4 a[32:35], v36, s[24:27], 0 offen       // 000000003C6C: E05C1000 80862024
	v_mfma_f32_16x16x32_fp8_fp8 v[80:83], a[116:117], v[172:173], v[80:83]// 000000003C74: D3F30050 0D435974
	v_mfma_f32_16x16x32_fp8_fp8 v[80:83], a[118:119], v[174:175], v[80:83]// 000000003C7C: D3F30050 0D435D76
	ds_read_b128 v[200:203], v2 offset:8320                    // 000000003C84: D9FE2080 C8000002
	v_mfma_f32_16x16x32_fp8_fp8 v[80:83], a[120:121], v[176:177], v[80:83]// 000000003C8C: D3F30050 0D436178
	v_mfma_f32_16x16x32_fp8_fp8 v[80:83], a[122:123], v[178:179], v[80:83]// 000000003C94: D3F30050 0D43657A
	buffer_load_dwordx4 a[36:39], v36, s[24:27], 0 offen offset:1024// 000000003C9C: E05C1400 80862424
	v_mfma_f32_16x16x32_fp8_fp8 v[80:83], a[124:125], v[180:181], v[80:83]// 000000003CA4: D3F30050 0D43697C
	v_mfma_f32_16x16x32_fp8_fp8 v[80:83], a[126:127], v[182:183], v[80:83]// 000000003CAC: D3F30050 0D436D7E
	ds_read_b128 v[204:207], v2 offset:8384                    // 000000003CB4: D9FE20C0 CC000002
	v_mfma_f32_16x16x32_fp8_fp8 v[84:87], a[112:113], v[184:185], v[84:87]// 000000003CBC: D3F30054 0D537170
	v_mfma_f32_16x16x32_fp8_fp8 v[84:87], a[114:115], v[186:187], v[84:87]// 000000003CC4: D3F30054 0D537572
	buffer_load_dwordx4 a[40:43], v36, s[24:27], 0 offen offset:2048// 000000003CCC: E05C1800 80862824
	v_mfma_f32_16x16x32_fp8_fp8 v[84:87], a[116:117], v[188:189], v[84:87]// 000000003CD4: D3F30054 0D537974
	v_mfma_f32_16x16x32_fp8_fp8 v[84:87], a[118:119], v[190:191], v[84:87]// 000000003CDC: D3F30054 0D537D76
	ds_read_b128 v[208:211], v2 offset:8448                    // 000000003CE4: D9FE2100 D0000002
	v_mfma_f32_16x16x32_fp8_fp8 v[84:87], a[120:121], v[192:193], v[84:87]// 000000003CEC: D3F30054 0D538178
	v_mfma_f32_16x16x32_fp8_fp8 v[84:87], a[122:123], v[194:195], v[84:87]// 000000003CF4: D3F30054 0D53857A
	buffer_load_dwordx4 a[44:47], v36, s[24:27], 0 offen offset:3072// 000000003CFC: E05C1C00 80862C24
	v_mfma_f32_16x16x32_fp8_fp8 v[84:87], a[124:125], v[196:197], v[84:87]// 000000003D04: D3F30054 0D53897C
	v_mfma_f32_16x16x32_fp8_fp8 v[84:87], a[126:127], v[198:199], v[84:87]// 000000003D0C: D3F30054 0D538D7E
	ds_read_b128 v[212:215], v2 offset:8512                    // 000000003D14: D9FE2140 D4000002
	s_waitcnt vmcnt(16)                                        // 000000003D1C: BF8C4F70
	v_mfma_f32_16x16x32_fp8_fp8 v[88:91], a[128:129], v[168:169], v[88:91]// 000000003D20: D3F30058 0D635180
	v_mfma_f32_16x16x32_fp8_fp8 v[88:91], a[130:131], v[170:171], v[88:91]// 000000003D28: D3F30058 0D635582
	buffer_load_dwordx4 a[48:51], v37, s[24:27], 0 offen       // 000000003D30: E05C1000 80863025
	v_mfma_f32_16x16x32_fp8_fp8 v[88:91], a[132:133], v[172:173], v[88:91]// 000000003D38: D3F30058 0D635984
	v_mfma_f32_16x16x32_fp8_fp8 v[88:91], a[134:135], v[174:175], v[88:91]// 000000003D40: D3F30058 0D635D86
	ds_read_b128 v[216:219], v2 offset:9344                    // 000000003D48: D9FE2480 D8000002
	v_mfma_f32_16x16x32_fp8_fp8 v[88:91], a[136:137], v[176:177], v[88:91]// 000000003D50: D3F30058 0D636188
	v_mfma_f32_16x16x32_fp8_fp8 v[88:91], a[138:139], v[178:179], v[88:91]// 000000003D58: D3F30058 0D63658A
	buffer_load_dwordx4 a[52:55], v37, s[24:27], 0 offen offset:1024// 000000003D60: E05C1400 80863425
	v_mfma_f32_16x16x32_fp8_fp8 v[88:91], a[140:141], v[180:181], v[88:91]// 000000003D68: D3F30058 0D63698C
	v_mfma_f32_16x16x32_fp8_fp8 v[88:91], a[142:143], v[182:183], v[88:91]// 000000003D70: D3F30058 0D636D8E
	ds_read_b128 v[220:223], v2 offset:9408                    // 000000003D78: D9FE24C0 DC000002
	v_mfma_f32_16x16x32_fp8_fp8 v[92:95], a[128:129], v[184:185], v[92:95]// 000000003D80: D3F3005C 0D737180
	v_mfma_f32_16x16x32_fp8_fp8 v[92:95], a[130:131], v[186:187], v[92:95]// 000000003D88: D3F3005C 0D737582
	buffer_load_dwordx4 a[56:59], v37, s[24:27], 0 offen offset:2048// 000000003D90: E05C1800 80863825
	v_mfma_f32_16x16x32_fp8_fp8 v[92:95], a[132:133], v[188:189], v[92:95]// 000000003D98: D3F3005C 0D737984
	v_mfma_f32_16x16x32_fp8_fp8 v[92:95], a[134:135], v[190:191], v[92:95]// 000000003DA0: D3F3005C 0D737D86
	ds_read_b128 v[224:227], v2 offset:9472                    // 000000003DA8: D9FE2500 E0000002
	v_mfma_f32_16x16x32_fp8_fp8 v[92:95], a[136:137], v[192:193], v[92:95]// 000000003DB0: D3F3005C 0D738188
	v_mfma_f32_16x16x32_fp8_fp8 v[92:95], a[138:139], v[194:195], v[92:95]// 000000003DB8: D3F3005C 0D73858A
	buffer_load_dwordx4 a[60:63], v37, s[24:27], 0 offen offset:3072// 000000003DC0: E05C1C00 80863C25
	v_mfma_f32_16x16x32_fp8_fp8 v[92:95], a[140:141], v[196:197], v[92:95]// 000000003DC8: D3F3005C 0D73898C
	v_mfma_f32_16x16x32_fp8_fp8 v[92:95], a[142:143], v[198:199], v[92:95]// 000000003DD0: D3F3005C 0D738D8E
	ds_read_b128 v[228:231], v2 offset:9536                    // 000000003DD8: D9FE2540 E4000002
	s_waitcnt vmcnt(16)                                        // 000000003DE0: BF8C4F70
	v_mfma_f32_16x16x32_fp8_fp8 v[96:99], a[144:145], v[168:169], v[96:99]// 000000003DE4: D3F30060 0D835190
	v_mfma_f32_16x16x32_fp8_fp8 v[96:99], a[146:147], v[170:171], v[96:99]// 000000003DEC: D3F30060 0D835592
	buffer_load_dwordx4 a[64:67], v38, s[24:27], 0 offen       // 000000003DF4: E05C1000 80864026
	v_mfma_f32_16x16x32_fp8_fp8 v[96:99], a[148:149], v[172:173], v[96:99]// 000000003DFC: D3F30060 0D835994
	v_mfma_f32_16x16x32_fp8_fp8 v[96:99], a[150:151], v[174:175], v[96:99]// 000000003E04: D3F30060 0D835D96
	v_mfma_f32_16x16x32_fp8_fp8 v[96:99], a[152:153], v[176:177], v[96:99]// 000000003E0C: D3F30060 0D836198
	v_mfma_f32_16x16x32_fp8_fp8 v[96:99], a[154:155], v[178:179], v[96:99]// 000000003E14: D3F30060 0D83659A
	buffer_load_dwordx4 a[68:71], v38, s[24:27], 0 offen offset:1024// 000000003E1C: E05C1400 80864426
	v_mfma_f32_16x16x32_fp8_fp8 v[96:99], a[156:157], v[180:181], v[96:99]// 000000003E24: D3F30060 0D83699C
	v_mfma_f32_16x16x32_fp8_fp8 v[96:99], a[158:159], v[182:183], v[96:99]// 000000003E2C: D3F30060 0D836D9E
	v_mfma_f32_16x16x32_fp8_fp8 v[100:103], a[144:145], v[184:185], v[100:103]// 000000003E34: D3F30064 0D937190
	v_mfma_f32_16x16x32_fp8_fp8 v[100:103], a[146:147], v[186:187], v[100:103]// 000000003E3C: D3F30064 0D937592
	buffer_load_dwordx4 a[72:75], v38, s[24:27], 0 offen offset:2048// 000000003E44: E05C1800 80864826
	v_mfma_f32_16x16x32_fp8_fp8 v[100:103], a[148:149], v[188:189], v[100:103]// 000000003E4C: D3F30064 0D937994
	v_mfma_f32_16x16x32_fp8_fp8 v[100:103], a[150:151], v[190:191], v[100:103]// 000000003E54: D3F30064 0D937D96
	v_mfma_f32_16x16x32_fp8_fp8 v[100:103], a[152:153], v[192:193], v[100:103]// 000000003E5C: D3F30064 0D938198
	v_mfma_f32_16x16x32_fp8_fp8 v[100:103], a[154:155], v[194:195], v[100:103]// 000000003E64: D3F30064 0D93859A
	buffer_load_dwordx4 a[76:79], v38, s[24:27], 0 offen offset:3072// 000000003E6C: E05C1C00 80864C26
	v_mfma_f32_16x16x32_fp8_fp8 v[100:103], a[156:157], v[196:197], v[100:103]// 000000003E74: D3F30064 0D93899C
	v_mfma_f32_16x16x32_fp8_fp8 v[100:103], a[158:159], v[198:199], v[100:103]// 000000003E7C: D3F30064 0D938D9E
	s_add_u32 s60, 0x200, s80                                  // 000000003E84: 803C50FF 00000200
	s_cmp_lt_u32 s60, s81                                      // 000000003E8C: BF0A513C
	s_cselect_b32 s57, s57, 0                                  // 000000003E90: 85398039
	s_add_u32 s60, 0x200, s80                                  // 000000003E94: 803C50FF 00000200
	s_cmp_lt_u32 s60, s81                                      // 000000003E9C: BF0A513C
	s_cselect_b32 s58, s58, 0                                  // 000000003EA0: 853A803A
	s_add_u32 s20, s57, s20                                    // 000000003EA4: 80141439
	s_addc_u32 s21, 0, s21                                     // 000000003EA8: 82151580
	s_add_u32 s24, s58, s24                                    // 000000003EAC: 8018183A
	s_addc_u32 s25, 0, s25                                     // 000000003EB0: 82191980
	s_add_u32 s92, s90, s92                                    // 000000003EB4: 805C5C5A
	s_addc_u32 s93, 0, s93                                     // 000000003EB8: 825D5D80
	s_addk_i32 s80, 0x100                                      // 000000003EBC: B7500100
	s_cmp_lt_i32 s80, s81                                      // 000000003EC0: BF045150
	s_cbranch_scc0 label_060D                                  // 000000003EC4: BF8401DB
	s_waitcnt vmcnt(12) lgkmcnt(0)                             // 000000003EC8: BF8C007C
	s_barrier                                                  // 000000003ECC: BF8A0000
	v_mfma_f32_16x16x32_fp8_fp8 v[128:131], a[0:1], v[200:201], v[128:131]// 000000003ED0: D3F30080 0E039100
	v_mfma_f32_16x16x32_fp8_fp8 v[128:131], a[2:3], v[202:203], v[128:131]// 000000003ED8: D3F30080 0E039502
	buffer_load_dwordx4 a[80:83], v34, s[92:95], 0 offen       // 000000003EE0: E05C1000 80975022
	v_mfma_f32_16x16x32_fp8_fp8 v[128:131], a[4:5], v[204:205], v[128:131]// 000000003EE8: D3F30080 0E039904
	v_mfma_f32_16x16x32_fp8_fp8 v[128:131], a[6:7], v[206:207], v[128:131]// 000000003EF0: D3F30080 0E039D06
	buffer_load_dword v26, s[20:23], 0 offen lds               // 000000003EF8: E0511000 8005001A
	s_add_u32 m0, 0x100, s50                                   // 000000003F00: 807C32FF 00000100
	v_mfma_f32_16x16x32_fp8_fp8 v[128:131], a[8:9], v[208:209], v[128:131]// 000000003F08: D3F30080 0E03A108
	v_mfma_f32_16x16x32_fp8_fp8 v[128:131], a[10:11], v[210:211], v[128:131]// 000000003F10: D3F30080 0E03A50A
	buffer_load_dwordx4 a[84:87], v34, s[92:95], 0 offen offset:1024// 000000003F18: E05C1400 80975422
	v_mfma_f32_16x16x32_fp8_fp8 v[128:131], a[12:13], v[212:213], v[128:131]// 000000003F20: D3F30080 0E03A90C
	v_mfma_f32_16x16x32_fp8_fp8 v[128:131], a[14:15], v[214:215], v[128:131]// 000000003F28: D3F30080 0E03AD0E
	buffer_load_dword v27, s[20:23], 0 offen lds               // 000000003F30: E0511000 8005001B
	s_add_u32 m0, 0x200, s50                                   // 000000003F38: 807C32FF 00000200
	v_mfma_f32_16x16x32_fp8_fp8 v[132:135], a[0:1], v[216:217], v[132:135]// 000000003F40: D3F30084 0E13B100
	v_mfma_f32_16x16x32_fp8_fp8 v[132:135], a[2:3], v[218:219], v[132:135]// 000000003F48: D3F30084 0E13B502
	buffer_load_dwordx4 a[88:91], v34, s[92:95], 0 offen offset:2048// 000000003F50: E05C1800 80975822
	v_mfma_f32_16x16x32_fp8_fp8 v[132:135], a[4:5], v[220:221], v[132:135]// 000000003F58: D3F30084 0E13B904
	v_mfma_f32_16x16x32_fp8_fp8 v[132:135], a[6:7], v[222:223], v[132:135]// 000000003F60: D3F30084 0E13BD06
	buffer_load_dword v28, s[20:23], 0 offen lds               // 000000003F68: E0511000 8005001C
	s_add_u32 m0, 0x300, s50                                   // 000000003F70: 807C32FF 00000300
	v_mfma_f32_16x16x32_fp8_fp8 v[132:135], a[8:9], v[224:225], v[132:135]// 000000003F78: D3F30084 0E13C108
	v_mfma_f32_16x16x32_fp8_fp8 v[132:135], a[10:11], v[226:227], v[132:135]// 000000003F80: D3F30084 0E13C50A
	buffer_load_dwordx4 a[92:95], v34, s[92:95], 0 offen offset:3072// 000000003F88: E05C1C00 80975C22
	v_mfma_f32_16x16x32_fp8_fp8 v[132:135], a[12:13], v[228:229], v[132:135]// 000000003F90: D3F30084 0E13C90C
	v_mfma_f32_16x16x32_fp8_fp8 v[132:135], a[14:15], v[230:231], v[132:135]// 000000003F98: D3F30084 0E13CD0E
	buffer_load_dword v29, s[20:23], 0 offen lds               // 000000003FA0: E0511000 8005001D
	s_add_u32 m0, 0x400, s50                                   // 000000003FA8: 807C32FF 00000400
	v_mfma_f32_16x16x32_fp8_fp8 v[136:139], a[16:17], v[200:201], v[136:139]// 000000003FB0: D3F30088 0E239110
	v_mfma_f32_16x16x32_fp8_fp8 v[136:139], a[18:19], v[202:203], v[136:139]// 000000003FB8: D3F30088 0E239512
	buffer_load_dwordx4 a[96:99], v35, s[92:95], 0 offen       // 000000003FC0: E05C1000 80976023
	v_mfma_f32_16x16x32_fp8_fp8 v[136:139], a[20:21], v[204:205], v[136:139]// 000000003FC8: D3F30088 0E239914
	v_mfma_f32_16x16x32_fp8_fp8 v[136:139], a[22:23], v[206:207], v[136:139]// 000000003FD0: D3F30088 0E239D16
	buffer_load_dword v30, s[20:23], 0 offen lds               // 000000003FD8: E0511000 8005001E
	s_add_u32 m0, 0x500, s50                                   // 000000003FE0: 807C32FF 00000500
	v_mfma_f32_16x16x32_fp8_fp8 v[136:139], a[24:25], v[208:209], v[136:139]// 000000003FE8: D3F30088 0E23A118
	v_mfma_f32_16x16x32_fp8_fp8 v[136:139], a[26:27], v[210:211], v[136:139]// 000000003FF0: D3F30088 0E23A51A
	buffer_load_dwordx4 a[100:103], v35, s[92:95], 0 offen offset:1024// 000000003FF8: E05C1400 80976423
	v_mfma_f32_16x16x32_fp8_fp8 v[136:139], a[28:29], v[212:213], v[136:139]// 000000004000: D3F30088 0E23A91C
	v_mfma_f32_16x16x32_fp8_fp8 v[136:139], a[30:31], v[214:215], v[136:139]// 000000004008: D3F30088 0E23AD1E
	buffer_load_dword v31, s[20:23], 0 offen lds               // 000000004010: E0511000 8005001F
	s_add_u32 m0, 0x600, s50                                   // 000000004018: 807C32FF 00000600
	v_mfma_f32_16x16x32_fp8_fp8 v[140:143], a[16:17], v[216:217], v[140:143]// 000000004020: D3F3008C 0E33B110
	v_mfma_f32_16x16x32_fp8_fp8 v[140:143], a[18:19], v[218:219], v[140:143]// 000000004028: D3F3008C 0E33B512
	buffer_load_dwordx4 a[104:107], v35, s[92:95], 0 offen offset:2048// 000000004030: E05C1800 80976823
	v_mfma_f32_16x16x32_fp8_fp8 v[140:143], a[20:21], v[220:221], v[140:143]// 000000004038: D3F3008C 0E33B914
	v_mfma_f32_16x16x32_fp8_fp8 v[140:143], a[22:23], v[222:223], v[140:143]// 000000004040: D3F3008C 0E33BD16
	buffer_load_dword v32, s[20:23], 0 offen lds               // 000000004048: E0511000 80050020
	s_add_u32 m0, 0x700, s50                                   // 000000004050: 807C32FF 00000700
	v_mfma_f32_16x16x32_fp8_fp8 v[140:143], a[24:25], v[224:225], v[140:143]// 000000004058: D3F3008C 0E33C118
	v_mfma_f32_16x16x32_fp8_fp8 v[140:143], a[26:27], v[226:227], v[140:143]// 000000004060: D3F3008C 0E33C51A
	buffer_load_dwordx4 a[108:111], v35, s[92:95], 0 offen offset:3072// 000000004068: E05C1C00 80976C23
	v_mfma_f32_16x16x32_fp8_fp8 v[140:143], a[28:29], v[228:229], v[140:143]// 000000004070: D3F3008C 0E33C91C
	v_mfma_f32_16x16x32_fp8_fp8 v[140:143], a[30:31], v[230:231], v[140:143]// 000000004078: D3F3008C 0E33CD1E
	buffer_load_dword v33, s[20:23], 0 offen lds               // 000000004080: E0511000 80050021
	s_add_u32 m0, 0, s51                                       // 000000004088: 807C3380
	s_waitcnt vmcnt(24)                                        // 00000000408C: BF8C4F78
	v_mfma_f32_16x16x32_fp8_fp8 v[144:147], a[32:33], v[200:201], v[144:147]// 000000004090: D3F30090 0E439120
	v_mfma_f32_16x16x32_fp8_fp8 v[144:147], a[34:35], v[202:203], v[144:147]// 000000004098: D3F30090 0E439522
	buffer_load_dwordx4 a[112:115], v36, s[92:95], 0 offen     // 0000000040A0: E05C1000 80977024
	v_mfma_f32_16x16x32_fp8_fp8 v[144:147], a[36:37], v[204:205], v[144:147]// 0000000040A8: D3F30090 0E439924
	v_mfma_f32_16x16x32_fp8_fp8 v[144:147], a[38:39], v[206:207], v[144:147]// 0000000040B0: D3F30090 0E439D26
	v_mfma_f32_16x16x32_fp8_fp8 v[144:147], a[40:41], v[208:209], v[144:147]// 0000000040B8: D3F30090 0E43A128
	v_mfma_f32_16x16x32_fp8_fp8 v[144:147], a[42:43], v[210:211], v[144:147]// 0000000040C0: D3F30090 0E43A52A
	buffer_load_dwordx4 a[116:119], v36, s[92:95], 0 offen offset:1024// 0000000040C8: E05C1400 80977424
	v_mfma_f32_16x16x32_fp8_fp8 v[144:147], a[44:45], v[212:213], v[144:147]// 0000000040D0: D3F30090 0E43A92C
	v_mfma_f32_16x16x32_fp8_fp8 v[144:147], a[46:47], v[214:215], v[144:147]// 0000000040D8: D3F30090 0E43AD2E
	v_mfma_f32_16x16x32_fp8_fp8 v[148:151], a[32:33], v[216:217], v[148:151]// 0000000040E0: D3F30094 0E53B120
	v_mfma_f32_16x16x32_fp8_fp8 v[148:151], a[34:35], v[218:219], v[148:151]// 0000000040E8: D3F30094 0E53B522
	buffer_load_dwordx4 a[120:123], v36, s[92:95], 0 offen offset:2048// 0000000040F0: E05C1800 80977824
	v_mfma_f32_16x16x32_fp8_fp8 v[148:151], a[36:37], v[220:221], v[148:151]// 0000000040F8: D3F30094 0E53B924
	v_mfma_f32_16x16x32_fp8_fp8 v[148:151], a[38:39], v[222:223], v[148:151]// 000000004100: D3F30094 0E53BD26
	v_mfma_f32_16x16x32_fp8_fp8 v[148:151], a[40:41], v[224:225], v[148:151]// 000000004108: D3F30094 0E53C128
	v_mfma_f32_16x16x32_fp8_fp8 v[148:151], a[42:43], v[226:227], v[148:151]// 000000004110: D3F30094 0E53C52A
	buffer_load_dwordx4 a[124:127], v36, s[92:95], 0 offen offset:3072// 000000004118: E05C1C00 80977C24
	v_mfma_f32_16x16x32_fp8_fp8 v[148:151], a[44:45], v[228:229], v[148:151]// 000000004120: D3F30094 0E53C92C
	v_mfma_f32_16x16x32_fp8_fp8 v[148:151], a[46:47], v[230:231], v[148:151]// 000000004128: D3F30094 0E53CD2E
	s_waitcnt vmcnt(24)                                        // 000000004130: BF8C4F78
	v_mfma_f32_16x16x32_fp8_fp8 v[152:155], a[48:49], v[200:201], v[152:155]// 000000004134: D3F30098 0E639130
	v_mfma_f32_16x16x32_fp8_fp8 v[152:155], a[50:51], v[202:203], v[152:155]// 00000000413C: D3F30098 0E639532
	buffer_load_dwordx4 a[128:131], v37, s[92:95], 0 offen     // 000000004144: E05C1000 80978025
	v_mfma_f32_16x16x32_fp8_fp8 v[152:155], a[52:53], v[204:205], v[152:155]// 00000000414C: D3F30098 0E639934
	v_mfma_f32_16x16x32_fp8_fp8 v[152:155], a[54:55], v[206:207], v[152:155]// 000000004154: D3F30098 0E639D36
	v_mfma_f32_16x16x32_fp8_fp8 v[152:155], a[56:57], v[208:209], v[152:155]// 00000000415C: D3F30098 0E63A138
	v_mfma_f32_16x16x32_fp8_fp8 v[152:155], a[58:59], v[210:211], v[152:155]// 000000004164: D3F30098 0E63A53A
	buffer_load_dwordx4 a[132:135], v37, s[92:95], 0 offen offset:1024// 00000000416C: E05C1400 80978425
	v_mfma_f32_16x16x32_fp8_fp8 v[152:155], a[60:61], v[212:213], v[152:155]// 000000004174: D3F30098 0E63A93C
	v_mfma_f32_16x16x32_fp8_fp8 v[152:155], a[62:63], v[214:215], v[152:155]// 00000000417C: D3F30098 0E63AD3E
	v_mfma_f32_16x16x32_fp8_fp8 v[156:159], a[48:49], v[216:217], v[156:159]// 000000004184: D3F3009C 0E73B130
	v_mfma_f32_16x16x32_fp8_fp8 v[156:159], a[50:51], v[218:219], v[156:159]// 00000000418C: D3F3009C 0E73B532
	buffer_load_dwordx4 a[136:139], v37, s[92:95], 0 offen offset:2048// 000000004194: E05C1800 80978825
	v_mfma_f32_16x16x32_fp8_fp8 v[156:159], a[52:53], v[220:221], v[156:159]// 00000000419C: D3F3009C 0E73B934
	v_mfma_f32_16x16x32_fp8_fp8 v[156:159], a[54:55], v[222:223], v[156:159]// 0000000041A4: D3F3009C 0E73BD36
	v_mfma_f32_16x16x32_fp8_fp8 v[156:159], a[56:57], v[224:225], v[156:159]// 0000000041AC: D3F3009C 0E73C138
	v_mfma_f32_16x16x32_fp8_fp8 v[156:159], a[58:59], v[226:227], v[156:159]// 0000000041B4: D3F3009C 0E73C53A
	buffer_load_dwordx4 a[140:143], v37, s[92:95], 0 offen offset:3072// 0000000041BC: E05C1C00 80978C25
	v_mfma_f32_16x16x32_fp8_fp8 v[156:159], a[60:61], v[228:229], v[156:159]// 0000000041C4: D3F3009C 0E73C93C
	v_mfma_f32_16x16x32_fp8_fp8 v[156:159], a[62:63], v[230:231], v[156:159]// 0000000041CC: D3F3009C 0E73CD3E
	s_waitcnt vmcnt(24)                                        // 0000000041D4: BF8C4F78
	v_mfma_f32_16x16x32_fp8_fp8 v[160:163], a[64:65], v[200:201], v[160:163]// 0000000041D8: D3F300A0 0E839140
	v_mfma_f32_16x16x32_fp8_fp8 v[160:163], a[66:67], v[202:203], v[160:163]// 0000000041E0: D3F300A0 0E839542
	buffer_load_dwordx4 a[144:147], v38, s[92:95], 0 offen     // 0000000041E8: E05C1000 80979026
	v_mfma_f32_16x16x32_fp8_fp8 v[160:163], a[68:69], v[204:205], v[160:163]// 0000000041F0: D3F300A0 0E839944
	v_mfma_f32_16x16x32_fp8_fp8 v[160:163], a[70:71], v[206:207], v[160:163]// 0000000041F8: D3F300A0 0E839D46
	v_mfma_f32_16x16x32_fp8_fp8 v[160:163], a[72:73], v[208:209], v[160:163]// 000000004200: D3F300A0 0E83A148
	v_mfma_f32_16x16x32_fp8_fp8 v[160:163], a[74:75], v[210:211], v[160:163]// 000000004208: D3F300A0 0E83A54A
	buffer_load_dwordx4 a[148:151], v38, s[92:95], 0 offen offset:1024// 000000004210: E05C1400 80979426
	v_mfma_f32_16x16x32_fp8_fp8 v[160:163], a[76:77], v[212:213], v[160:163]// 000000004218: D3F300A0 0E83A94C
	v_mfma_f32_16x16x32_fp8_fp8 v[160:163], a[78:79], v[214:215], v[160:163]// 000000004220: D3F300A0 0E83AD4E
	v_mfma_f32_16x16x32_fp8_fp8 v[164:167], a[64:65], v[216:217], v[164:167]// 000000004228: D3F300A4 0E93B140
	v_mfma_f32_16x16x32_fp8_fp8 v[164:167], a[66:67], v[218:219], v[164:167]// 000000004230: D3F300A4 0E93B542
	buffer_load_dwordx4 a[152:155], v38, s[92:95], 0 offen offset:2048// 000000004238: E05C1800 80979826
	v_mfma_f32_16x16x32_fp8_fp8 v[164:167], a[68:69], v[220:221], v[164:167]// 000000004240: D3F300A4 0E93B944
	v_mfma_f32_16x16x32_fp8_fp8 v[164:167], a[70:71], v[222:223], v[164:167]// 000000004248: D3F300A4 0E93BD46
	v_mfma_f32_16x16x32_fp8_fp8 v[164:167], a[72:73], v[224:225], v[164:167]// 000000004250: D3F300A4 0E93C148
	v_mfma_f32_16x16x32_fp8_fp8 v[164:167], a[74:75], v[226:227], v[164:167]// 000000004258: D3F300A4 0E93C54A
	buffer_load_dwordx4 a[156:159], v38, s[92:95], 0 offen offset:3072// 000000004260: E05C1C00 80979C26
	v_mfma_f32_16x16x32_fp8_fp8 v[164:167], a[76:77], v[228:229], v[164:167]// 000000004268: D3F300A4 0E93C94C
	v_mfma_f32_16x16x32_fp8_fp8 v[164:167], a[78:79], v[230:231], v[164:167]// 000000004270: D3F300A4 0E93CD4E
	s_waitcnt vmcnt(12)                                        // 000000004278: BF8C0F7C
	s_barrier                                                  // 00000000427C: BF8A0000
	v_mfma_f32_16x16x32_fp8_fp8 v[64:67], a[80:81], v[200:201], v[64:67]// 000000004280: D3F30040 0D039150
	v_mfma_f32_16x16x32_fp8_fp8 v[64:67], a[82:83], v[202:203], v[64:67]// 000000004288: D3F30040 0D039552
	buffer_load_dwordx4 a[0:3], v34, s[24:27], 0 offen         // 000000004290: E05C1000 80860022
	v_mfma_f32_16x16x32_fp8_fp8 v[64:67], a[84:85], v[204:205], v[64:67]// 000000004298: D3F30040 0D039954
	v_mfma_f32_16x16x32_fp8_fp8 v[64:67], a[86:87], v[206:207], v[64:67]// 0000000042A0: D3F30040 0D039D56
	v_mfma_f32_16x16x32_fp8_fp8 v[64:67], a[88:89], v[208:209], v[64:67]// 0000000042A8: D3F30040 0D03A158
	v_mfma_f32_16x16x32_fp8_fp8 v[64:67], a[90:91], v[210:211], v[64:67]// 0000000042B0: D3F30040 0D03A55A
	buffer_load_dwordx4 a[4:7], v34, s[24:27], 0 offen offset:1024// 0000000042B8: E05C1400 80860422
	v_mfma_f32_16x16x32_fp8_fp8 v[64:67], a[92:93], v[212:213], v[64:67]// 0000000042C0: D3F30040 0D03A95C
	v_mfma_f32_16x16x32_fp8_fp8 v[64:67], a[94:95], v[214:215], v[64:67]// 0000000042C8: D3F30040 0D03AD5E
	v_mfma_f32_16x16x32_fp8_fp8 v[68:71], a[80:81], v[216:217], v[68:71]// 0000000042D0: D3F30044 0D13B150
	v_mfma_f32_16x16x32_fp8_fp8 v[68:71], a[82:83], v[218:219], v[68:71]// 0000000042D8: D3F30044 0D13B552
	buffer_load_dwordx4 a[8:11], v34, s[24:27], 0 offen offset:2048// 0000000042E0: E05C1800 80860822
	v_mfma_f32_16x16x32_fp8_fp8 v[68:71], a[84:85], v[220:221], v[68:71]// 0000000042E8: D3F30044 0D13B954
	v_mfma_f32_16x16x32_fp8_fp8 v[68:71], a[86:87], v[222:223], v[68:71]// 0000000042F0: D3F30044 0D13BD56
	v_mfma_f32_16x16x32_fp8_fp8 v[68:71], a[88:89], v[224:225], v[68:71]// 0000000042F8: D3F30044 0D13C158
	v_mfma_f32_16x16x32_fp8_fp8 v[68:71], a[90:91], v[226:227], v[68:71]// 000000004300: D3F30044 0D13C55A
	buffer_load_dwordx4 a[12:15], v34, s[24:27], 0 offen offset:3072// 000000004308: E05C1C00 80860C22
	v_mfma_f32_16x16x32_fp8_fp8 v[68:71], a[92:93], v[228:229], v[68:71]// 000000004310: D3F30044 0D13C95C
	v_mfma_f32_16x16x32_fp8_fp8 v[68:71], a[94:95], v[230:231], v[68:71]// 000000004318: D3F30044 0D13CD5E
	v_mfma_f32_16x16x32_fp8_fp8 v[72:75], a[96:97], v[200:201], v[72:75]// 000000004320: D3F30048 0D239160
	v_mfma_f32_16x16x32_fp8_fp8 v[72:75], a[98:99], v[202:203], v[72:75]// 000000004328: D3F30048 0D239562
	buffer_load_dwordx4 a[16:19], v35, s[24:27], 0 offen       // 000000004330: E05C1000 80861023
	v_mfma_f32_16x16x32_fp8_fp8 v[72:75], a[100:101], v[204:205], v[72:75]// 000000004338: D3F30048 0D239964
	v_mfma_f32_16x16x32_fp8_fp8 v[72:75], a[102:103], v[206:207], v[72:75]// 000000004340: D3F30048 0D239D66
	v_mfma_f32_16x16x32_fp8_fp8 v[72:75], a[104:105], v[208:209], v[72:75]// 000000004348: D3F30048 0D23A168
	v_mfma_f32_16x16x32_fp8_fp8 v[72:75], a[106:107], v[210:211], v[72:75]// 000000004350: D3F30048 0D23A56A
	buffer_load_dwordx4 a[20:23], v35, s[24:27], 0 offen offset:1024// 000000004358: E05C1400 80861423
	v_mfma_f32_16x16x32_fp8_fp8 v[72:75], a[108:109], v[212:213], v[72:75]// 000000004360: D3F30048 0D23A96C
	v_mfma_f32_16x16x32_fp8_fp8 v[72:75], a[110:111], v[214:215], v[72:75]// 000000004368: D3F30048 0D23AD6E
	v_mfma_f32_16x16x32_fp8_fp8 v[76:79], a[96:97], v[216:217], v[76:79]// 000000004370: D3F3004C 0D33B160
	v_mfma_f32_16x16x32_fp8_fp8 v[76:79], a[98:99], v[218:219], v[76:79]// 000000004378: D3F3004C 0D33B562
	buffer_load_dwordx4 a[24:27], v35, s[24:27], 0 offen offset:2048// 000000004380: E05C1800 80861823
	v_mfma_f32_16x16x32_fp8_fp8 v[76:79], a[100:101], v[220:221], v[76:79]// 000000004388: D3F3004C 0D33B964
	v_mfma_f32_16x16x32_fp8_fp8 v[76:79], a[102:103], v[222:223], v[76:79]// 000000004390: D3F3004C 0D33BD66
	v_mfma_f32_16x16x32_fp8_fp8 v[76:79], a[104:105], v[224:225], v[76:79]// 000000004398: D3F3004C 0D33C168
	v_mfma_f32_16x16x32_fp8_fp8 v[76:79], a[106:107], v[226:227], v[76:79]// 0000000043A0: D3F3004C 0D33C56A
	buffer_load_dwordx4 a[28:31], v35, s[24:27], 0 offen offset:3072// 0000000043A8: E05C1C00 80861C23
	v_mfma_f32_16x16x32_fp8_fp8 v[76:79], a[108:109], v[228:229], v[76:79]// 0000000043B0: D3F3004C 0D33C96C
	v_mfma_f32_16x16x32_fp8_fp8 v[76:79], a[110:111], v[230:231], v[76:79]// 0000000043B8: D3F3004C 0D33CD6E
	s_waitcnt vmcnt(16)                                        // 0000000043C0: BF8C4F70
	v_mfma_f32_16x16x32_fp8_fp8 v[80:83], a[112:113], v[200:201], v[80:83]// 0000000043C4: D3F30050 0D439170
	v_mfma_f32_16x16x32_fp8_fp8 v[80:83], a[114:115], v[202:203], v[80:83]// 0000000043CC: D3F30050 0D439572
	buffer_load_dwordx4 a[32:35], v36, s[24:27], 0 offen       // 0000000043D4: E05C1000 80862024
	v_mfma_f32_16x16x32_fp8_fp8 v[80:83], a[116:117], v[204:205], v[80:83]// 0000000043DC: D3F30050 0D439974
	v_mfma_f32_16x16x32_fp8_fp8 v[80:83], a[118:119], v[206:207], v[80:83]// 0000000043E4: D3F30050 0D439D76
	ds_read_b128 v[168:171], v2                                // 0000000043EC: D9FE0000 A8000002
	v_mfma_f32_16x16x32_fp8_fp8 v[80:83], a[120:121], v[208:209], v[80:83]// 0000000043F4: D3F30050 0D43A178
	v_mfma_f32_16x16x32_fp8_fp8 v[80:83], a[122:123], v[210:211], v[80:83]// 0000000043FC: D3F30050 0D43A57A
	buffer_load_dwordx4 a[36:39], v36, s[24:27], 0 offen offset:1024// 000000004404: E05C1400 80862424
	v_mfma_f32_16x16x32_fp8_fp8 v[80:83], a[124:125], v[212:213], v[80:83]// 00000000440C: D3F30050 0D43A97C
	v_mfma_f32_16x16x32_fp8_fp8 v[80:83], a[126:127], v[214:215], v[80:83]// 000000004414: D3F30050 0D43AD7E
	ds_read_b128 v[172:175], v2 offset:64                      // 00000000441C: D9FE0040 AC000002
	v_mfma_f32_16x16x32_fp8_fp8 v[84:87], a[112:113], v[216:217], v[84:87]// 000000004424: D3F30054 0D53B170
	v_mfma_f32_16x16x32_fp8_fp8 v[84:87], a[114:115], v[218:219], v[84:87]// 00000000442C: D3F30054 0D53B572
	buffer_load_dwordx4 a[40:43], v36, s[24:27], 0 offen offset:2048// 000000004434: E05C1800 80862824
	v_mfma_f32_16x16x32_fp8_fp8 v[84:87], a[116:117], v[220:221], v[84:87]// 00000000443C: D3F30054 0D53B974
	v_mfma_f32_16x16x32_fp8_fp8 v[84:87], a[118:119], v[222:223], v[84:87]// 000000004444: D3F30054 0D53BD76
	ds_read_b128 v[176:179], v2 offset:128                     // 00000000444C: D9FE0080 B0000002
	v_mfma_f32_16x16x32_fp8_fp8 v[84:87], a[120:121], v[224:225], v[84:87]// 000000004454: D3F30054 0D53C178
	v_mfma_f32_16x16x32_fp8_fp8 v[84:87], a[122:123], v[226:227], v[84:87]// 00000000445C: D3F30054 0D53C57A
	buffer_load_dwordx4 a[44:47], v36, s[24:27], 0 offen offset:3072// 000000004464: E05C1C00 80862C24
	v_mfma_f32_16x16x32_fp8_fp8 v[84:87], a[124:125], v[228:229], v[84:87]// 00000000446C: D3F30054 0D53C97C
	v_mfma_f32_16x16x32_fp8_fp8 v[84:87], a[126:127], v[230:231], v[84:87]// 000000004474: D3F30054 0D53CD7E
	ds_read_b128 v[180:183], v2 offset:192                     // 00000000447C: D9FE00C0 B4000002
	s_waitcnt vmcnt(16)                                        // 000000004484: BF8C4F70
	v_mfma_f32_16x16x32_fp8_fp8 v[88:91], a[128:129], v[200:201], v[88:91]// 000000004488: D3F30058 0D639180
	v_mfma_f32_16x16x32_fp8_fp8 v[88:91], a[130:131], v[202:203], v[88:91]// 000000004490: D3F30058 0D639582
	buffer_load_dwordx4 a[48:51], v37, s[24:27], 0 offen       // 000000004498: E05C1000 80863025
	v_mfma_f32_16x16x32_fp8_fp8 v[88:91], a[132:133], v[204:205], v[88:91]// 0000000044A0: D3F30058 0D639984
	v_mfma_f32_16x16x32_fp8_fp8 v[88:91], a[134:135], v[206:207], v[88:91]// 0000000044A8: D3F30058 0D639D86
	ds_read_b128 v[184:187], v2 offset:1024                    // 0000000044B0: D9FE0400 B8000002
	v_mfma_f32_16x16x32_fp8_fp8 v[88:91], a[136:137], v[208:209], v[88:91]// 0000000044B8: D3F30058 0D63A188
	v_mfma_f32_16x16x32_fp8_fp8 v[88:91], a[138:139], v[210:211], v[88:91]// 0000000044C0: D3F30058 0D63A58A
	buffer_load_dwordx4 a[52:55], v37, s[24:27], 0 offen offset:1024// 0000000044C8: E05C1400 80863425
	v_mfma_f32_16x16x32_fp8_fp8 v[88:91], a[140:141], v[212:213], v[88:91]// 0000000044D0: D3F30058 0D63A98C
	v_mfma_f32_16x16x32_fp8_fp8 v[88:91], a[142:143], v[214:215], v[88:91]// 0000000044D8: D3F30058 0D63AD8E
	ds_read_b128 v[188:191], v2 offset:1088                    // 0000000044E0: D9FE0440 BC000002
	v_mfma_f32_16x16x32_fp8_fp8 v[92:95], a[128:129], v[216:217], v[92:95]// 0000000044E8: D3F3005C 0D73B180
	v_mfma_f32_16x16x32_fp8_fp8 v[92:95], a[130:131], v[218:219], v[92:95]// 0000000044F0: D3F3005C 0D73B582
	buffer_load_dwordx4 a[56:59], v37, s[24:27], 0 offen offset:2048// 0000000044F8: E05C1800 80863825
	v_mfma_f32_16x16x32_fp8_fp8 v[92:95], a[132:133], v[220:221], v[92:95]// 000000004500: D3F3005C 0D73B984
	v_mfma_f32_16x16x32_fp8_fp8 v[92:95], a[134:135], v[222:223], v[92:95]// 000000004508: D3F3005C 0D73BD86
	ds_read_b128 v[192:195], v2 offset:1152                    // 000000004510: D9FE0480 C0000002
	v_mfma_f32_16x16x32_fp8_fp8 v[92:95], a[136:137], v[224:225], v[92:95]// 000000004518: D3F3005C 0D73C188
	v_mfma_f32_16x16x32_fp8_fp8 v[92:95], a[138:139], v[226:227], v[92:95]// 000000004520: D3F3005C 0D73C58A
	buffer_load_dwordx4 a[60:63], v37, s[24:27], 0 offen offset:3072// 000000004528: E05C1C00 80863C25
	v_mfma_f32_16x16x32_fp8_fp8 v[92:95], a[140:141], v[228:229], v[92:95]// 000000004530: D3F3005C 0D73C98C
	v_mfma_f32_16x16x32_fp8_fp8 v[92:95], a[142:143], v[230:231], v[92:95]// 000000004538: D3F3005C 0D73CD8E
	ds_read_b128 v[196:199], v2 offset:1216                    // 000000004540: D9FE04C0 C4000002
	s_waitcnt vmcnt(16)                                        // 000000004548: BF8C4F70
	v_mfma_f32_16x16x32_fp8_fp8 v[96:99], a[144:145], v[200:201], v[96:99]// 00000000454C: D3F30060 0D839190
	v_mfma_f32_16x16x32_fp8_fp8 v[96:99], a[146:147], v[202:203], v[96:99]// 000000004554: D3F30060 0D839592
	buffer_load_dwordx4 a[64:67], v38, s[24:27], 0 offen       // 00000000455C: E05C1000 80864026
	v_mfma_f32_16x16x32_fp8_fp8 v[96:99], a[148:149], v[204:205], v[96:99]// 000000004564: D3F30060 0D839994
	v_mfma_f32_16x16x32_fp8_fp8 v[96:99], a[150:151], v[206:207], v[96:99]// 00000000456C: D3F30060 0D839D96
	v_mfma_f32_16x16x32_fp8_fp8 v[96:99], a[152:153], v[208:209], v[96:99]// 000000004574: D3F30060 0D83A198
	v_mfma_f32_16x16x32_fp8_fp8 v[96:99], a[154:155], v[210:211], v[96:99]// 00000000457C: D3F30060 0D83A59A
	buffer_load_dwordx4 a[68:71], v38, s[24:27], 0 offen offset:1024// 000000004584: E05C1400 80864426
	v_mfma_f32_16x16x32_fp8_fp8 v[96:99], a[156:157], v[212:213], v[96:99]// 00000000458C: D3F30060 0D83A99C
	v_mfma_f32_16x16x32_fp8_fp8 v[96:99], a[158:159], v[214:215], v[96:99]// 000000004594: D3F30060 0D83AD9E
	v_mfma_f32_16x16x32_fp8_fp8 v[100:103], a[144:145], v[216:217], v[100:103]// 00000000459C: D3F30064 0D93B190
	v_mfma_f32_16x16x32_fp8_fp8 v[100:103], a[146:147], v[218:219], v[100:103]// 0000000045A4: D3F30064 0D93B592
	buffer_load_dwordx4 a[72:75], v38, s[24:27], 0 offen offset:2048// 0000000045AC: E05C1800 80864826
	v_mfma_f32_16x16x32_fp8_fp8 v[100:103], a[148:149], v[220:221], v[100:103]// 0000000045B4: D3F30064 0D93B994
	v_mfma_f32_16x16x32_fp8_fp8 v[100:103], a[150:151], v[222:223], v[100:103]// 0000000045BC: D3F30064 0D93BD96
	v_mfma_f32_16x16x32_fp8_fp8 v[100:103], a[152:153], v[224:225], v[100:103]// 0000000045C4: D3F30064 0D93C198
	v_mfma_f32_16x16x32_fp8_fp8 v[100:103], a[154:155], v[226:227], v[100:103]// 0000000045CC: D3F30064 0D93C59A
	buffer_load_dwordx4 a[76:79], v38, s[24:27], 0 offen offset:3072// 0000000045D4: E05C1C00 80864C26
	v_mfma_f32_16x16x32_fp8_fp8 v[100:103], a[156:157], v[228:229], v[100:103]// 0000000045DC: D3F30064 0D93C99C
	v_mfma_f32_16x16x32_fp8_fp8 v[100:103], a[158:159], v[230:231], v[100:103]// 0000000045E4: D3F30064 0D93CD9E
	s_add_u32 s60, 0x200, s80                                  // 0000000045EC: 803C50FF 00000200
	s_cmp_lt_u32 s60, s81                                      // 0000000045F4: BF0A513C
	s_cselect_b32 s57, s57, 0                                  // 0000000045F8: 85398039
	s_add_u32 s60, 0x200, s80                                  // 0000000045FC: 803C50FF 00000200
	s_cmp_lt_u32 s60, s81                                      // 000000004604: BF0A513C
	s_cselect_b32 s58, s58, 0                                  // 000000004608: 853A803A
	s_add_u32 s20, s57, s20                                    // 00000000460C: 80141439
	s_addc_u32 s21, 0, s21                                     // 000000004610: 82151580
	s_add_u32 s24, s58, s24                                    // 000000004614: 8018183A
	s_addc_u32 s25, 0, s25                                     // 000000004618: 82191980
	s_add_u32 s92, s90, s92                                    // 00000000461C: 805C5C5A
	s_addc_u32 s93, 0, s93                                     // 000000004620: 825D5D80
	s_addk_i32 s80, 0x100                                      // 000000004624: B7500100
	s_cmp_lt_i32 s80, s81                                      // 000000004628: BF045150
	s_cbranch_scc0 label_060D                                  // 00000000462C: BF840001
	s_branch label_0258                                        // 000000004630: BF82FC4B

0000000000004634 <label_060D>:
	s_mov_b32 s20, 0                                           // 000000004634: BE940080
	s_cmp_lt_u32 s89, s66                                      // 000000004638: BF0A4259
	s_cselect_b32 s60, 0, 1                                    // 00000000463C: 853C8180
	s_lshl1_add_u32 s20, s20, s60                              // 000000004640: 97143C14
	s_cmp_lt_u32 s88, s66                                      // 000000004644: BF0A4258
	s_cselect_b32 s60, 0, 1                                    // 000000004648: 853C8180
	s_lshl1_add_u32 s20, s20, s60                              // 00000000464C: 97143C14
	s_cmp_lt_u32 s87, s66                                      // 000000004650: BF0A4257
	s_cselect_b32 s60, 0, 1                                    // 000000004654: 853C8180
	s_lshl1_add_u32 s20, s20, s60                              // 000000004658: 97143C14
	s_cmp_lt_u32 s86, s66                                      // 00000000465C: BF0A4256
	s_cselect_b32 s60, 0, 1                                    // 000000004660: 853C8180
	s_lshl1_add_u32 s20, s20, s60                              // 000000004664: 97143C14
	s_cmp_lt_u32 s85, s66                                      // 000000004668: BF0A4255
	s_cselect_b32 s60, 0, 1                                    // 00000000466C: 853C8180
	s_lshl1_add_u32 s20, s20, s60                              // 000000004670: 97143C14
	s_cmp_lt_u32 s84, s66                                      // 000000004674: BF0A4254
	s_cselect_b32 s60, 0, 1                                    // 000000004678: 853C8180
	s_lshl1_add_u32 s20, s20, s60                              // 00000000467C: 97143C14
	s_cmp_lt_u32 s83, s66                                      // 000000004680: BF0A4253
	s_cselect_b32 s60, 0, 1                                    // 000000004684: 853C8180
	s_lshl1_add_u32 s20, s20, s60                              // 000000004688: 97143C14
	s_cmp_lt_u32 s82, s66                                      // 00000000468C: BF0A4252
	s_cselect_b32 s60, 0, 1                                    // 000000004690: 853C8180
	s_lshl1_add_u32 s20, s20, s60                              // 000000004694: 97143C14
	v_mul_f32_e32 v128, v14, v128                              // 000000004698: 0B01010E
	v_mul_f32_e32 v129, v14, v129                              // 00000000469C: 0B03030E
	v_mul_f32_e32 v130, v14, v130                              // 0000000046A0: 0B05050E
	v_mul_f32_e32 v131, v14, v131                              // 0000000046A4: 0B07070E
	v_mul_f32_dpp v128, v16, v128 row_newbcast:0 row_mask:0xf bank_mask:0xf// 0000000046A8: 0B0100FA FF015010
	v_mul_f32_dpp v129, v16, v129 row_newbcast:1 row_mask:0xf bank_mask:0xf// 0000000046B0: 0B0302FA FF015110
	v_mul_f32_dpp v130, v16, v130 row_newbcast:2 row_mask:0xf bank_mask:0xf// 0000000046B8: 0B0504FA FF015210
	v_mul_f32_dpp v131, v16, v131 row_newbcast:3 row_mask:0xf bank_mask:0xf// 0000000046C0: 0B0706FA FF015310
	v_mul_f32_e32 v132, v15, v132                              // 0000000046C8: 0B09090F
	v_mul_f32_e32 v133, v15, v133                              // 0000000046CC: 0B0B0B0F
	v_mul_f32_e32 v134, v15, v134                              // 0000000046D0: 0B0D0D0F
	v_mul_f32_e32 v135, v15, v135                              // 0000000046D4: 0B0F0F0F
	v_mul_f32_dpp v132, v16, v132 row_newbcast:0 row_mask:0xf bank_mask:0xf// 0000000046D8: 0B0908FA FF015010
	v_mul_f32_dpp v133, v16, v133 row_newbcast:1 row_mask:0xf bank_mask:0xf// 0000000046E0: 0B0B0AFA FF015110
	v_mul_f32_dpp v134, v16, v134 row_newbcast:2 row_mask:0xf bank_mask:0xf// 0000000046E8: 0B0D0CFA FF015210
	v_mul_f32_dpp v135, v16, v135 row_newbcast:3 row_mask:0xf bank_mask:0xf// 0000000046F0: 0B0F0EFA FF015310
	v_mul_f32_e32 v136, v14, v136                              // 0000000046F8: 0B11110E
	v_mul_f32_e32 v137, v14, v137                              // 0000000046FC: 0B13130E
	v_mul_f32_e32 v138, v14, v138                              // 000000004700: 0B15150E
	v_mul_f32_e32 v139, v14, v139                              // 000000004704: 0B17170E
	v_mul_f32_dpp v136, v16, v136 row_newbcast:4 row_mask:0xf bank_mask:0xf// 000000004708: 0B1110FA FF015410
	v_mul_f32_dpp v137, v16, v137 row_newbcast:5 row_mask:0xf bank_mask:0xf// 000000004710: 0B1312FA FF015510
	v_mul_f32_dpp v138, v16, v138 row_newbcast:6 row_mask:0xf bank_mask:0xf// 000000004718: 0B1514FA FF015610
	v_mul_f32_dpp v139, v16, v139 row_newbcast:7 row_mask:0xf bank_mask:0xf// 000000004720: 0B1716FA FF015710
	v_mul_f32_e32 v140, v15, v140                              // 000000004728: 0B19190F
	v_mul_f32_e32 v141, v15, v141                              // 00000000472C: 0B1B1B0F
	v_mul_f32_e32 v142, v15, v142                              // 000000004730: 0B1D1D0F
	v_mul_f32_e32 v143, v15, v143                              // 000000004734: 0B1F1F0F
	v_mul_f32_dpp v140, v16, v140 row_newbcast:4 row_mask:0xf bank_mask:0xf// 000000004738: 0B1918FA FF015410
	v_mul_f32_dpp v141, v16, v141 row_newbcast:5 row_mask:0xf bank_mask:0xf// 000000004740: 0B1B1AFA FF015510
	v_mul_f32_dpp v142, v16, v142 row_newbcast:6 row_mask:0xf bank_mask:0xf// 000000004748: 0B1D1CFA FF015610
	v_mul_f32_dpp v143, v16, v143 row_newbcast:7 row_mask:0xf bank_mask:0xf// 000000004750: 0B1F1EFA FF015710
	v_mul_f32_e32 v144, v14, v144                              // 000000004758: 0B21210E
	v_mul_f32_e32 v145, v14, v145                              // 00000000475C: 0B23230E
	v_mul_f32_e32 v146, v14, v146                              // 000000004760: 0B25250E
	v_mul_f32_e32 v147, v14, v147                              // 000000004764: 0B27270E
	v_mul_f32_dpp v144, v16, v144 row_newbcast:8 row_mask:0xf bank_mask:0xf// 000000004768: 0B2120FA FF015810
	v_mul_f32_dpp v145, v16, v145 row_newbcast:9 row_mask:0xf bank_mask:0xf// 000000004770: 0B2322FA FF015910
	v_mul_f32_dpp v146, v16, v146 row_newbcast:10 row_mask:0xf bank_mask:0xf// 000000004778: 0B2524FA FF015A10
	v_mul_f32_dpp v147, v16, v147 row_newbcast:11 row_mask:0xf bank_mask:0xf// 000000004780: 0B2726FA FF015B10
	v_mul_f32_e32 v148, v15, v148                              // 000000004788: 0B29290F
	v_mul_f32_e32 v149, v15, v149                              // 00000000478C: 0B2B2B0F
	v_mul_f32_e32 v150, v15, v150                              // 000000004790: 0B2D2D0F
	v_mul_f32_e32 v151, v15, v151                              // 000000004794: 0B2F2F0F
	v_mul_f32_dpp v148, v16, v148 row_newbcast:8 row_mask:0xf bank_mask:0xf// 000000004798: 0B2928FA FF015810
	v_mul_f32_dpp v149, v16, v149 row_newbcast:9 row_mask:0xf bank_mask:0xf// 0000000047A0: 0B2B2AFA FF015910
	v_mul_f32_dpp v150, v16, v150 row_newbcast:10 row_mask:0xf bank_mask:0xf// 0000000047A8: 0B2D2CFA FF015A10
	v_mul_f32_dpp v151, v16, v151 row_newbcast:11 row_mask:0xf bank_mask:0xf// 0000000047B0: 0B2F2EFA FF015B10
	v_mul_f32_e32 v152, v14, v152                              // 0000000047B8: 0B31310E
	v_mul_f32_e32 v153, v14, v153                              // 0000000047BC: 0B33330E
	v_mul_f32_e32 v154, v14, v154                              // 0000000047C0: 0B35350E
	v_mul_f32_e32 v155, v14, v155                              // 0000000047C4: 0B37370E
	v_mul_f32_dpp v152, v16, v152 row_newbcast:12 row_mask:0xf bank_mask:0xf// 0000000047C8: 0B3130FA FF015C10
	v_mul_f32_dpp v153, v16, v153 row_newbcast:13 row_mask:0xf bank_mask:0xf// 0000000047D0: 0B3332FA FF015D10
	v_mul_f32_dpp v154, v16, v154 row_newbcast:14 row_mask:0xf bank_mask:0xf// 0000000047D8: 0B3534FA FF015E10
	v_mul_f32_dpp v155, v16, v155 row_newbcast:15 row_mask:0xf bank_mask:0xf// 0000000047E0: 0B3736FA FF015F10
	v_mul_f32_e32 v156, v15, v156                              // 0000000047E8: 0B39390F
	v_mul_f32_e32 v157, v15, v157                              // 0000000047EC: 0B3B3B0F
	v_mul_f32_e32 v158, v15, v158                              // 0000000047F0: 0B3D3D0F
	v_mul_f32_e32 v159, v15, v159                              // 0000000047F4: 0B3F3F0F
	v_mul_f32_dpp v156, v16, v156 row_newbcast:12 row_mask:0xf bank_mask:0xf// 0000000047F8: 0B3938FA FF015C10
	v_mul_f32_dpp v157, v16, v157 row_newbcast:13 row_mask:0xf bank_mask:0xf// 000000004800: 0B3B3AFA FF015D10
	v_mul_f32_dpp v158, v16, v158 row_newbcast:14 row_mask:0xf bank_mask:0xf// 000000004808: 0B3D3CFA FF015E10
	v_mul_f32_dpp v159, v16, v159 row_newbcast:15 row_mask:0xf bank_mask:0xf// 000000004810: 0B3F3EFA FF015F10
	v_mul_f32_e32 v160, v14, v160                              // 000000004818: 0B41410E
	v_mul_f32_e32 v161, v14, v161                              // 00000000481C: 0B43430E
	v_mul_f32_e32 v162, v14, v162                              // 000000004820: 0B45450E
	v_mul_f32_e32 v163, v14, v163                              // 000000004824: 0B47470E
	v_mul_f32_dpp v160, v17, v160 row_newbcast:0 row_mask:0xf bank_mask:0xf// 000000004828: 0B4140FA FF015011
	v_mul_f32_dpp v161, v17, v161 row_newbcast:1 row_mask:0xf bank_mask:0xf// 000000004830: 0B4342FA FF015111
	v_mul_f32_dpp v162, v17, v162 row_newbcast:2 row_mask:0xf bank_mask:0xf// 000000004838: 0B4544FA FF015211
	v_mul_f32_dpp v163, v17, v163 row_newbcast:3 row_mask:0xf bank_mask:0xf// 000000004840: 0B4746FA FF015311
	v_mul_f32_e32 v164, v15, v164                              // 000000004848: 0B49490F
	v_mul_f32_e32 v165, v15, v165                              // 00000000484C: 0B4B4B0F
	v_mul_f32_e32 v166, v15, v166                              // 000000004850: 0B4D4D0F
	v_mul_f32_e32 v167, v15, v167                              // 000000004854: 0B4F4F0F
	v_mul_f32_dpp v164, v17, v164 row_newbcast:0 row_mask:0xf bank_mask:0xf// 000000004858: 0B4948FA FF015011
	v_mul_f32_dpp v165, v17, v165 row_newbcast:1 row_mask:0xf bank_mask:0xf// 000000004860: 0B4B4AFA FF015111
	v_mul_f32_dpp v166, v17, v166 row_newbcast:2 row_mask:0xf bank_mask:0xf// 000000004868: 0B4D4CFA FF015211
	v_mul_f32_dpp v167, v17, v167 row_newbcast:3 row_mask:0xf bank_mask:0xf// 000000004870: 0B4F4EFA FF015311
	v_mul_f32_e32 v64, v14, v64                                // 000000004878: 0A80810E
	v_mul_f32_e32 v65, v14, v65                                // 00000000487C: 0A82830E
	v_mul_f32_e32 v66, v14, v66                                // 000000004880: 0A84850E
	v_mul_f32_e32 v67, v14, v67                                // 000000004884: 0A86870E
	v_mul_f32_dpp v64, v47, v64 row_newbcast:0 row_mask:0xf bank_mask:0xf// 000000004888: 0A8080FA FF01502F
	v_mul_f32_dpp v65, v47, v65 row_newbcast:1 row_mask:0xf bank_mask:0xf// 000000004890: 0A8282FA FF01512F
	v_mul_f32_dpp v66, v47, v66 row_newbcast:2 row_mask:0xf bank_mask:0xf// 000000004898: 0A8484FA FF01522F
	v_mul_f32_dpp v67, v47, v67 row_newbcast:3 row_mask:0xf bank_mask:0xf// 0000000048A0: 0A8686FA FF01532F
	v_mul_f32_e32 v68, v15, v68                                // 0000000048A8: 0A88890F
	v_mul_f32_e32 v69, v15, v69                                // 0000000048AC: 0A8A8B0F
	v_mul_f32_e32 v70, v15, v70                                // 0000000048B0: 0A8C8D0F
	v_mul_f32_e32 v71, v15, v71                                // 0000000048B4: 0A8E8F0F
	v_mul_f32_dpp v68, v47, v68 row_newbcast:0 row_mask:0xf bank_mask:0xf// 0000000048B8: 0A8888FA FF01502F
	v_mul_f32_dpp v69, v47, v69 row_newbcast:1 row_mask:0xf bank_mask:0xf// 0000000048C0: 0A8A8AFA FF01512F
	v_mul_f32_dpp v70, v47, v70 row_newbcast:2 row_mask:0xf bank_mask:0xf// 0000000048C8: 0A8C8CFA FF01522F
	v_mul_f32_dpp v71, v47, v71 row_newbcast:3 row_mask:0xf bank_mask:0xf// 0000000048D0: 0A8E8EFA FF01532F
	v_mul_f32_e32 v72, v14, v72                                // 0000000048D8: 0A90910E
	v_mul_f32_e32 v73, v14, v73                                // 0000000048DC: 0A92930E
	v_mul_f32_e32 v74, v14, v74                                // 0000000048E0: 0A94950E
	v_mul_f32_e32 v75, v14, v75                                // 0000000048E4: 0A96970E
	v_mul_f32_dpp v72, v47, v72 row_newbcast:4 row_mask:0xf bank_mask:0xf// 0000000048E8: 0A9090FA FF01542F
	v_mul_f32_dpp v73, v47, v73 row_newbcast:5 row_mask:0xf bank_mask:0xf// 0000000048F0: 0A9292FA FF01552F
	v_mul_f32_dpp v74, v47, v74 row_newbcast:6 row_mask:0xf bank_mask:0xf// 0000000048F8: 0A9494FA FF01562F
	v_mul_f32_dpp v75, v47, v75 row_newbcast:7 row_mask:0xf bank_mask:0xf// 000000004900: 0A9696FA FF01572F
	v_mul_f32_e32 v76, v15, v76                                // 000000004908: 0A98990F
	v_mul_f32_e32 v77, v15, v77                                // 00000000490C: 0A9A9B0F
	v_mul_f32_e32 v78, v15, v78                                // 000000004910: 0A9C9D0F
	v_mul_f32_e32 v79, v15, v79                                // 000000004914: 0A9E9F0F
	v_mul_f32_dpp v76, v47, v76 row_newbcast:4 row_mask:0xf bank_mask:0xf// 000000004918: 0A9898FA FF01542F
	v_mul_f32_dpp v77, v47, v77 row_newbcast:5 row_mask:0xf bank_mask:0xf// 000000004920: 0A9A9AFA FF01552F
	v_mul_f32_dpp v78, v47, v78 row_newbcast:6 row_mask:0xf bank_mask:0xf// 000000004928: 0A9C9CFA FF01562F
	v_mul_f32_dpp v79, v47, v79 row_newbcast:7 row_mask:0xf bank_mask:0xf// 000000004930: 0A9E9EFA FF01572F
	v_mul_f32_e32 v80, v14, v80                                // 000000004938: 0AA0A10E
	v_mul_f32_e32 v81, v14, v81                                // 00000000493C: 0AA2A30E
	v_mul_f32_e32 v82, v14, v82                                // 000000004940: 0AA4A50E
	v_mul_f32_e32 v83, v14, v83                                // 000000004944: 0AA6A70E
	v_mul_f32_dpp v80, v47, v80 row_newbcast:8 row_mask:0xf bank_mask:0xf// 000000004948: 0AA0A0FA FF01582F
	v_mul_f32_dpp v81, v47, v81 row_newbcast:9 row_mask:0xf bank_mask:0xf// 000000004950: 0AA2A2FA FF01592F
	v_mul_f32_dpp v82, v47, v82 row_newbcast:10 row_mask:0xf bank_mask:0xf// 000000004958: 0AA4A4FA FF015A2F
	v_mul_f32_dpp v83, v47, v83 row_newbcast:11 row_mask:0xf bank_mask:0xf// 000000004960: 0AA6A6FA FF015B2F
	v_mul_f32_e32 v84, v15, v84                                // 000000004968: 0AA8A90F
	v_mul_f32_e32 v85, v15, v85                                // 00000000496C: 0AAAAB0F
	v_mul_f32_e32 v86, v15, v86                                // 000000004970: 0AACAD0F
	v_mul_f32_e32 v87, v15, v87                                // 000000004974: 0AAEAF0F
	v_mul_f32_dpp v84, v47, v84 row_newbcast:8 row_mask:0xf bank_mask:0xf// 000000004978: 0AA8A8FA FF01582F
	v_mul_f32_dpp v85, v47, v85 row_newbcast:9 row_mask:0xf bank_mask:0xf// 000000004980: 0AAAAAFA FF01592F
	v_mul_f32_dpp v86, v47, v86 row_newbcast:10 row_mask:0xf bank_mask:0xf// 000000004988: 0AACACFA FF015A2F
	v_mul_f32_dpp v87, v47, v87 row_newbcast:11 row_mask:0xf bank_mask:0xf// 000000004990: 0AAEAEFA FF015B2F
	v_mul_f32_e32 v88, v14, v88                                // 000000004998: 0AB0B10E
	v_mul_f32_e32 v89, v14, v89                                // 00000000499C: 0AB2B30E
	v_mul_f32_e32 v90, v14, v90                                // 0000000049A0: 0AB4B50E
	v_mul_f32_e32 v91, v14, v91                                // 0000000049A4: 0AB6B70E
	v_mul_f32_dpp v88, v47, v88 row_newbcast:12 row_mask:0xf bank_mask:0xf// 0000000049A8: 0AB0B0FA FF015C2F
	v_mul_f32_dpp v89, v47, v89 row_newbcast:13 row_mask:0xf bank_mask:0xf// 0000000049B0: 0AB2B2FA FF015D2F
	v_mul_f32_dpp v90, v47, v90 row_newbcast:14 row_mask:0xf bank_mask:0xf// 0000000049B8: 0AB4B4FA FF015E2F
	v_mul_f32_dpp v91, v47, v91 row_newbcast:15 row_mask:0xf bank_mask:0xf// 0000000049C0: 0AB6B6FA FF015F2F
	v_mul_f32_e32 v92, v15, v92                                // 0000000049C8: 0AB8B90F
	v_mul_f32_e32 v93, v15, v93                                // 0000000049CC: 0ABABB0F
	v_mul_f32_e32 v94, v15, v94                                // 0000000049D0: 0ABCBD0F
	v_mul_f32_e32 v95, v15, v95                                // 0000000049D4: 0ABEBF0F
	v_mul_f32_dpp v92, v47, v92 row_newbcast:12 row_mask:0xf bank_mask:0xf// 0000000049D8: 0AB8B8FA FF015C2F
	v_mul_f32_dpp v93, v47, v93 row_newbcast:13 row_mask:0xf bank_mask:0xf// 0000000049E0: 0ABABAFA FF015D2F
	v_mul_f32_dpp v94, v47, v94 row_newbcast:14 row_mask:0xf bank_mask:0xf// 0000000049E8: 0ABCBCFA FF015E2F
	v_mul_f32_dpp v95, v47, v95 row_newbcast:15 row_mask:0xf bank_mask:0xf// 0000000049F0: 0ABEBEFA FF015F2F
	v_mul_f32_e32 v96, v14, v96                                // 0000000049F8: 0AC0C10E
	v_mul_f32_e32 v97, v14, v97                                // 0000000049FC: 0AC2C30E
	v_mul_f32_e32 v98, v14, v98                                // 000000004A00: 0AC4C50E
	v_mul_f32_e32 v99, v14, v99                                // 000000004A04: 0AC6C70E
	v_mul_f32_dpp v96, v48, v96 row_newbcast:0 row_mask:0xf bank_mask:0xf// 000000004A08: 0AC0C0FA FF015030
	v_mul_f32_dpp v97, v48, v97 row_newbcast:1 row_mask:0xf bank_mask:0xf// 000000004A10: 0AC2C2FA FF015130
	v_mul_f32_dpp v98, v48, v98 row_newbcast:2 row_mask:0xf bank_mask:0xf// 000000004A18: 0AC4C4FA FF015230
	v_mul_f32_dpp v99, v48, v99 row_newbcast:3 row_mask:0xf bank_mask:0xf// 000000004A20: 0AC6C6FA FF015330
	v_mul_f32_e32 v100, v15, v100                              // 000000004A28: 0AC8C90F
	v_mul_f32_e32 v101, v15, v101                              // 000000004A2C: 0ACACB0F
	v_mul_f32_e32 v102, v15, v102                              // 000000004A30: 0ACCCD0F
	v_mul_f32_e32 v103, v15, v103                              // 000000004A34: 0ACECF0F
	v_mul_f32_dpp v100, v48, v100 row_newbcast:0 row_mask:0xf bank_mask:0xf// 000000004A38: 0AC8C8FA FF015030
	v_mul_f32_dpp v101, v48, v101 row_newbcast:1 row_mask:0xf bank_mask:0xf// 000000004A40: 0ACACAFA FF015130
	v_mul_f32_dpp v102, v48, v102 row_newbcast:2 row_mask:0xf bank_mask:0xf// 000000004A48: 0ACCCCFA FF015230
	v_mul_f32_dpp v103, v48, v103 row_newbcast:3 row_mask:0xf bank_mask:0xf// 000000004A50: 0ACECEFA FF015330
	s_waitcnt vmcnt(16)                                        // 000000004A58: BF8C4F70
	buffer_load_dwordx4 a[0:3], v39, s[12:15], 0 offen         // 000000004A5C: E05C1000 80830027
	v_mul_f32_e32 v50, v128, v128                              // 000000004A64: 0A650180
	v_mul_f32_e32 v51, v129, v129                              // 000000004A68: 0A670381
	v_mul_f32_e32 v52, v130, v130                              // 000000004A6C: 0A690582
	v_mul_f32_e32 v53, v131, v131                              // 000000004A70: 0A6B0783
	v_fma_f32 v50, v50, s77, v1                                // 000000004A74: D1CB0032 04049B32
	v_fma_f32 v51, v51, s77, v1                                // 000000004A7C: D1CB0033 04049B33
	v_fma_f32 v52, v52, s77, v1                                // 000000004A84: D1CB0034 04049B34
	v_fma_f32 v53, v53, s77, v1                                // 000000004A8C: D1CB0035 04049B35
	v_mul_f32_e32 v50, v50, v128                               // 000000004A94: 0A650132
	v_mul_f32_e32 v51, v51, v129                               // 000000004A98: 0A670333
	v_mul_f32_e32 v52, v52, v130                               // 000000004A9C: 0A690534
	v_mul_f32_e32 v53, v53, v131                               // 000000004AA0: 0A6B0735
	v_mul_f32_e64 v50, v50, s6                                 // 000000004AA4: D1050032 00000D32
	v_mul_f32_e64 v51, v51, s6                                 // 000000004AAC: D1050033 00000D33
	v_mul_f32_e64 v52, v52, s6                                 // 000000004AB4: D1050034 00000D34
	v_mul_f32_e64 v53, v53, s6                                 // 000000004ABC: D1050035 00000D35
	v_exp_f32_e32 v50, v50                                     // 000000004AC4: 7E644132
	v_exp_f32_e32 v51, v51                                     // 000000004AC8: 7E664133
	v_exp_f32_e32 v52, v52                                     // 000000004ACC: 7E684134
	v_exp_f32_e32 v53, v53                                     // 000000004AD0: 7E6A4135
	buffer_load_dwordx4 a[4:7], v40, s[12:15], 0 offen         // 000000004AD4: E05C1000 80830428
	v_add_f32_e64 v50, v50, 1.0                                // 000000004ADC: D1010032 0001E532
	v_add_f32_e64 v51, v51, 1.0                                // 000000004AE4: D1010033 0001E533
	v_add_f32_e64 v52, v52, 1.0                                // 000000004AEC: D1010034 0001E534
	v_add_f32_e64 v53, v53, 1.0                                // 000000004AF4: D1010035 0001E535
	v_rcp_f32_e32 v50, v50                                     // 000000004AFC: 7E644532
	v_rcp_f32_e32 v51, v51                                     // 000000004B00: 7E664533
	v_rcp_f32_e32 v52, v52                                     // 000000004B04: 7E684534
	v_rcp_f32_e32 v53, v53                                     // 000000004B08: 7E6A4535
	v_mul_f32_e32 v128, v128, v50                              // 000000004B0C: 0B006580
	v_mul_f32_e32 v129, v129, v51                              // 000000004B10: 0B026781
	v_mul_f32_e32 v130, v130, v52                              // 000000004B14: 0B046982
	v_mul_f32_e32 v131, v131, v53                              // 000000004B18: 0B066B83
	v_mul_f32_e32 v128, v128, v64                              // 000000004B1C: 0B008180
	v_mul_f32_e32 v129, v129, v65                              // 000000004B20: 0B028381
	v_mul_f32_e32 v130, v130, v66                              // 000000004B24: 0B048582
	v_mul_f32_e32 v131, v131, v67                              // 000000004B28: 0B068783
	buffer_load_dwordx4 a[8:11], v41, s[12:15], 0 offen        // 000000004B2C: E05C1000 80830829
	v_mul_f32_e32 v50, v132, v132                              // 000000004B34: 0A650984
	v_mul_f32_e32 v51, v133, v133                              // 000000004B38: 0A670B85
	v_mul_f32_e32 v52, v134, v134                              // 000000004B3C: 0A690D86
	v_mul_f32_e32 v53, v135, v135                              // 000000004B40: 0A6B0F87
	v_fma_f32 v50, v50, s77, v1                                // 000000004B44: D1CB0032 04049B32
	v_fma_f32 v51, v51, s77, v1                                // 000000004B4C: D1CB0033 04049B33
	v_fma_f32 v52, v52, s77, v1                                // 000000004B54: D1CB0034 04049B34
	v_fma_f32 v53, v53, s77, v1                                // 000000004B5C: D1CB0035 04049B35
	v_mul_f32_e32 v50, v50, v132                               // 000000004B64: 0A650932
	v_mul_f32_e32 v51, v51, v133                               // 000000004B68: 0A670B33
	v_mul_f32_e32 v52, v52, v134                               // 000000004B6C: 0A690D34
	v_mul_f32_e32 v53, v53, v135                               // 000000004B70: 0A6B0F35
	v_mul_f32_e64 v50, v50, s6                                 // 000000004B74: D1050032 00000D32
	v_mul_f32_e64 v51, v51, s6                                 // 000000004B7C: D1050033 00000D33
	v_mul_f32_e64 v52, v52, s6                                 // 000000004B84: D1050034 00000D34
	v_mul_f32_e64 v53, v53, s6                                 // 000000004B8C: D1050035 00000D35
	v_exp_f32_e32 v50, v50                                     // 000000004B94: 7E644132
	v_exp_f32_e32 v51, v51                                     // 000000004B98: 7E664133
	v_exp_f32_e32 v52, v52                                     // 000000004B9C: 7E684134
	v_exp_f32_e32 v53, v53                                     // 000000004BA0: 7E6A4135
	buffer_load_dwordx4 a[12:15], v42, s[12:15], 0 offen       // 000000004BA4: E05C1000 80830C2A
	s_add_u32 s12, s78, s12                                    // 000000004BAC: 800C0C4E
	s_addc_u32 s13, 0, s13                                     // 000000004BB0: 820D0D80
	v_add_f32_e64 v50, v50, 1.0                                // 000000004BB4: D1010032 0001E532
	v_add_f32_e64 v51, v51, 1.0                                // 000000004BBC: D1010033 0001E533
	v_add_f32_e64 v52, v52, 1.0                                // 000000004BC4: D1010034 0001E534
	v_add_f32_e64 v53, v53, 1.0                                // 000000004BCC: D1010035 0001E535
	v_rcp_f32_e32 v50, v50                                     // 000000004BD4: 7E644532
	v_rcp_f32_e32 v51, v51                                     // 000000004BD8: 7E664533
	v_rcp_f32_e32 v52, v52                                     // 000000004BDC: 7E684534
	v_rcp_f32_e32 v53, v53                                     // 000000004BE0: 7E6A4535
	v_mul_f32_e32 v132, v132, v50                              // 000000004BE4: 0B086584
	v_mul_f32_e32 v133, v133, v51                              // 000000004BE8: 0B0A6785
	v_mul_f32_e32 v134, v134, v52                              // 000000004BEC: 0B0C6986
	v_mul_f32_e32 v135, v135, v53                              // 000000004BF0: 0B0E6B87
	v_mul_f32_e32 v132, v132, v68                              // 000000004BF4: 0B088984
	v_mul_f32_e32 v133, v133, v69                              // 000000004BF8: 0B0A8B85
	v_mul_f32_e32 v134, v134, v70                              // 000000004BFC: 0B0C8D86
	v_mul_f32_e32 v135, v135, v71                              // 000000004C00: 0B0E8F87
	s_waitcnt vmcnt(16)                                        // 000000004C04: BF8C4F70
	buffer_load_dwordx4 a[16:19], v39, s[12:15], 0 offen       // 000000004C08: E05C1000 80831027
	v_mul_f32_e32 v50, v136, v136                              // 000000004C10: 0A651188
	v_mul_f32_e32 v51, v137, v137                              // 000000004C14: 0A671389
	v_mul_f32_e32 v52, v138, v138                              // 000000004C18: 0A69158A
	v_mul_f32_e32 v53, v139, v139                              // 000000004C1C: 0A6B178B
	v_fma_f32 v50, v50, s77, v1                                // 000000004C20: D1CB0032 04049B32
	v_fma_f32 v51, v51, s77, v1                                // 000000004C28: D1CB0033 04049B33
	v_fma_f32 v52, v52, s77, v1                                // 000000004C30: D1CB0034 04049B34
	v_fma_f32 v53, v53, s77, v1                                // 000000004C38: D1CB0035 04049B35
	v_mul_f32_e32 v50, v50, v136                               // 000000004C40: 0A651132
	v_mul_f32_e32 v51, v51, v137                               // 000000004C44: 0A671333
	v_mul_f32_e32 v52, v52, v138                               // 000000004C48: 0A691534
	v_mul_f32_e32 v53, v53, v139                               // 000000004C4C: 0A6B1735
	v_mul_f32_e64 v50, v50, s6                                 // 000000004C50: D1050032 00000D32
	v_mul_f32_e64 v51, v51, s6                                 // 000000004C58: D1050033 00000D33
	v_mul_f32_e64 v52, v52, s6                                 // 000000004C60: D1050034 00000D34
	v_mul_f32_e64 v53, v53, s6                                 // 000000004C68: D1050035 00000D35
	v_exp_f32_e32 v50, v50                                     // 000000004C70: 7E644132
	v_exp_f32_e32 v51, v51                                     // 000000004C74: 7E664133
	v_exp_f32_e32 v52, v52                                     // 000000004C78: 7E684134
	v_exp_f32_e32 v53, v53                                     // 000000004C7C: 7E6A4135
	buffer_load_dwordx4 a[20:23], v40, s[12:15], 0 offen       // 000000004C80: E05C1000 80831428
	v_add_f32_e64 v50, v50, 1.0                                // 000000004C88: D1010032 0001E532
	v_add_f32_e64 v51, v51, 1.0                                // 000000004C90: D1010033 0001E533
	v_add_f32_e64 v52, v52, 1.0                                // 000000004C98: D1010034 0001E534
	v_add_f32_e64 v53, v53, 1.0                                // 000000004CA0: D1010035 0001E535
	v_rcp_f32_e32 v50, v50                                     // 000000004CA8: 7E644532
	v_rcp_f32_e32 v51, v51                                     // 000000004CAC: 7E664533
	v_rcp_f32_e32 v52, v52                                     // 000000004CB0: 7E684534
	v_rcp_f32_e32 v53, v53                                     // 000000004CB4: 7E6A4535
	v_mul_f32_e32 v136, v136, v50                              // 000000004CB8: 0B106588
	v_mul_f32_e32 v137, v137, v51                              // 000000004CBC: 0B126789
	v_mul_f32_e32 v138, v138, v52                              // 000000004CC0: 0B14698A
	v_mul_f32_e32 v139, v139, v53                              // 000000004CC4: 0B166B8B
	v_mul_f32_e32 v136, v136, v72                              // 000000004CC8: 0B109188
	v_mul_f32_e32 v137, v137, v73                              // 000000004CCC: 0B129389
	v_mul_f32_e32 v138, v138, v74                              // 000000004CD0: 0B14958A
	v_mul_f32_e32 v139, v139, v75                              // 000000004CD4: 0B16978B
	buffer_load_dwordx4 a[24:27], v41, s[12:15], 0 offen       // 000000004CD8: E05C1000 80831829
	v_mul_f32_e32 v50, v140, v140                              // 000000004CE0: 0A65198C
	v_mul_f32_e32 v51, v141, v141                              // 000000004CE4: 0A671B8D
	v_mul_f32_e32 v52, v142, v142                              // 000000004CE8: 0A691D8E
	v_mul_f32_e32 v53, v143, v143                              // 000000004CEC: 0A6B1F8F
	v_fma_f32 v50, v50, s77, v1                                // 000000004CF0: D1CB0032 04049B32
	v_fma_f32 v51, v51, s77, v1                                // 000000004CF8: D1CB0033 04049B33
	v_fma_f32 v52, v52, s77, v1                                // 000000004D00: D1CB0034 04049B34
	v_fma_f32 v53, v53, s77, v1                                // 000000004D08: D1CB0035 04049B35
	v_mul_f32_e32 v50, v50, v140                               // 000000004D10: 0A651932
	v_mul_f32_e32 v51, v51, v141                               // 000000004D14: 0A671B33
	v_mul_f32_e32 v52, v52, v142                               // 000000004D18: 0A691D34
	v_mul_f32_e32 v53, v53, v143                               // 000000004D1C: 0A6B1F35
	v_mul_f32_e64 v50, v50, s6                                 // 000000004D20: D1050032 00000D32
	v_mul_f32_e64 v51, v51, s6                                 // 000000004D28: D1050033 00000D33
	v_mul_f32_e64 v52, v52, s6                                 // 000000004D30: D1050034 00000D34
	v_mul_f32_e64 v53, v53, s6                                 // 000000004D38: D1050035 00000D35
	v_exp_f32_e32 v50, v50                                     // 000000004D40: 7E644132
	v_exp_f32_e32 v51, v51                                     // 000000004D44: 7E664133
	v_exp_f32_e32 v52, v52                                     // 000000004D48: 7E684134
	v_exp_f32_e32 v53, v53                                     // 000000004D4C: 7E6A4135
	buffer_load_dwordx4 a[28:31], v42, s[12:15], 0 offen       // 000000004D50: E05C1000 80831C2A
	s_add_u32 s12, s78, s12                                    // 000000004D58: 800C0C4E
	s_addc_u32 s13, 0, s13                                     // 000000004D5C: 820D0D80
	v_add_f32_e64 v50, v50, 1.0                                // 000000004D60: D1010032 0001E532
	v_add_f32_e64 v51, v51, 1.0                                // 000000004D68: D1010033 0001E533
	v_add_f32_e64 v52, v52, 1.0                                // 000000004D70: D1010034 0001E534
	v_add_f32_e64 v53, v53, 1.0                                // 000000004D78: D1010035 0001E535
	v_rcp_f32_e32 v50, v50                                     // 000000004D80: 7E644532
	v_rcp_f32_e32 v51, v51                                     // 000000004D84: 7E664533
	v_rcp_f32_e32 v52, v52                                     // 000000004D88: 7E684534
	v_rcp_f32_e32 v53, v53                                     // 000000004D8C: 7E6A4535
	v_mul_f32_e32 v140, v140, v50                              // 000000004D90: 0B18658C
	v_mul_f32_e32 v141, v141, v51                              // 000000004D94: 0B1A678D
	v_mul_f32_e32 v142, v142, v52                              // 000000004D98: 0B1C698E
	v_mul_f32_e32 v143, v143, v53                              // 000000004D9C: 0B1E6B8F
	v_mul_f32_e32 v140, v140, v76                              // 000000004DA0: 0B18998C
	v_mul_f32_e32 v141, v141, v77                              // 000000004DA4: 0B1A9B8D
	v_mul_f32_e32 v142, v142, v78                              // 000000004DA8: 0B1C9D8E
	v_mul_f32_e32 v143, v143, v79                              // 000000004DAC: 0B1E9F8F
	s_waitcnt vmcnt(16)                                        // 000000004DB0: BF8C4F70
	buffer_load_dwordx4 a[32:35], v39, s[12:15], 0 offen       // 000000004DB4: E05C1000 80832027
	v_mul_f32_e32 v50, v144, v144                              // 000000004DBC: 0A652190
	v_mul_f32_e32 v51, v145, v145                              // 000000004DC0: 0A672391
	v_mul_f32_e32 v52, v146, v146                              // 000000004DC4: 0A692592
	v_mul_f32_e32 v53, v147, v147                              // 000000004DC8: 0A6B2793
	v_fma_f32 v50, v50, s77, v1                                // 000000004DCC: D1CB0032 04049B32
	v_fma_f32 v51, v51, s77, v1                                // 000000004DD4: D1CB0033 04049B33
	v_fma_f32 v52, v52, s77, v1                                // 000000004DDC: D1CB0034 04049B34
	v_fma_f32 v53, v53, s77, v1                                // 000000004DE4: D1CB0035 04049B35
	v_mul_f32_e32 v50, v50, v144                               // 000000004DEC: 0A652132
	v_mul_f32_e32 v51, v51, v145                               // 000000004DF0: 0A672333
	v_mul_f32_e32 v52, v52, v146                               // 000000004DF4: 0A692534
	v_mul_f32_e32 v53, v53, v147                               // 000000004DF8: 0A6B2735
	v_mul_f32_e64 v50, v50, s6                                 // 000000004DFC: D1050032 00000D32
	v_mul_f32_e64 v51, v51, s6                                 // 000000004E04: D1050033 00000D33
	v_mul_f32_e64 v52, v52, s6                                 // 000000004E0C: D1050034 00000D34
	v_mul_f32_e64 v53, v53, s6                                 // 000000004E14: D1050035 00000D35
	v_exp_f32_e32 v50, v50                                     // 000000004E1C: 7E644132
	v_exp_f32_e32 v51, v51                                     // 000000004E20: 7E664133
	v_exp_f32_e32 v52, v52                                     // 000000004E24: 7E684134
	v_exp_f32_e32 v53, v53                                     // 000000004E28: 7E6A4135
	buffer_load_dwordx4 a[36:39], v40, s[12:15], 0 offen       // 000000004E2C: E05C1000 80832428
	v_add_f32_e64 v50, v50, 1.0                                // 000000004E34: D1010032 0001E532
	v_add_f32_e64 v51, v51, 1.0                                // 000000004E3C: D1010033 0001E533
	v_add_f32_e64 v52, v52, 1.0                                // 000000004E44: D1010034 0001E534
	v_add_f32_e64 v53, v53, 1.0                                // 000000004E4C: D1010035 0001E535
	v_rcp_f32_e32 v50, v50                                     // 000000004E54: 7E644532
	v_rcp_f32_e32 v51, v51                                     // 000000004E58: 7E664533
	v_rcp_f32_e32 v52, v52                                     // 000000004E5C: 7E684534
	v_rcp_f32_e32 v53, v53                                     // 000000004E60: 7E6A4535
	v_mul_f32_e32 v144, v144, v50                              // 000000004E64: 0B206590
	v_mul_f32_e32 v145, v145, v51                              // 000000004E68: 0B226791
	v_mul_f32_e32 v146, v146, v52                              // 000000004E6C: 0B246992
	v_mul_f32_e32 v147, v147, v53                              // 000000004E70: 0B266B93
	v_mul_f32_e32 v144, v144, v80                              // 000000004E74: 0B20A190
	v_mul_f32_e32 v145, v145, v81                              // 000000004E78: 0B22A391
	v_mul_f32_e32 v146, v146, v82                              // 000000004E7C: 0B24A592
	v_mul_f32_e32 v147, v147, v83                              // 000000004E80: 0B26A793
	buffer_load_dwordx4 a[40:43], v41, s[12:15], 0 offen       // 000000004E84: E05C1000 80832829
	v_mul_f32_e32 v50, v148, v148                              // 000000004E8C: 0A652994
	v_mul_f32_e32 v51, v149, v149                              // 000000004E90: 0A672B95
	v_mul_f32_e32 v52, v150, v150                              // 000000004E94: 0A692D96
	v_mul_f32_e32 v53, v151, v151                              // 000000004E98: 0A6B2F97
	v_fma_f32 v50, v50, s77, v1                                // 000000004E9C: D1CB0032 04049B32
	v_fma_f32 v51, v51, s77, v1                                // 000000004EA4: D1CB0033 04049B33
	v_fma_f32 v52, v52, s77, v1                                // 000000004EAC: D1CB0034 04049B34
	v_fma_f32 v53, v53, s77, v1                                // 000000004EB4: D1CB0035 04049B35
	v_mul_f32_e32 v50, v50, v148                               // 000000004EBC: 0A652932
	v_mul_f32_e32 v51, v51, v149                               // 000000004EC0: 0A672B33
	v_mul_f32_e32 v52, v52, v150                               // 000000004EC4: 0A692D34
	v_mul_f32_e32 v53, v53, v151                               // 000000004EC8: 0A6B2F35
	v_mul_f32_e64 v50, v50, s6                                 // 000000004ECC: D1050032 00000D32
	v_mul_f32_e64 v51, v51, s6                                 // 000000004ED4: D1050033 00000D33
	v_mul_f32_e64 v52, v52, s6                                 // 000000004EDC: D1050034 00000D34
	v_mul_f32_e64 v53, v53, s6                                 // 000000004EE4: D1050035 00000D35
	v_exp_f32_e32 v50, v50                                     // 000000004EEC: 7E644132
	v_exp_f32_e32 v51, v51                                     // 000000004EF0: 7E664133
	v_exp_f32_e32 v52, v52                                     // 000000004EF4: 7E684134
	v_exp_f32_e32 v53, v53                                     // 000000004EF8: 7E6A4135
	buffer_load_dwordx4 a[44:47], v42, s[12:15], 0 offen       // 000000004EFC: E05C1000 80832C2A
	s_add_u32 s12, s78, s12                                    // 000000004F04: 800C0C4E
	s_addc_u32 s13, 0, s13                                     // 000000004F08: 820D0D80
	v_add_f32_e64 v50, v50, 1.0                                // 000000004F0C: D1010032 0001E532
	v_add_f32_e64 v51, v51, 1.0                                // 000000004F14: D1010033 0001E533
	v_add_f32_e64 v52, v52, 1.0                                // 000000004F1C: D1010034 0001E534
	v_add_f32_e64 v53, v53, 1.0                                // 000000004F24: D1010035 0001E535
	v_rcp_f32_e32 v50, v50                                     // 000000004F2C: 7E644532
	v_rcp_f32_e32 v51, v51                                     // 000000004F30: 7E664533
	v_rcp_f32_e32 v52, v52                                     // 000000004F34: 7E684534
	v_rcp_f32_e32 v53, v53                                     // 000000004F38: 7E6A4535
	v_mul_f32_e32 v148, v148, v50                              // 000000004F3C: 0B286594
	v_mul_f32_e32 v149, v149, v51                              // 000000004F40: 0B2A6795
	v_mul_f32_e32 v150, v150, v52                              // 000000004F44: 0B2C6996
	v_mul_f32_e32 v151, v151, v53                              // 000000004F48: 0B2E6B97
	v_mul_f32_e32 v148, v148, v84                              // 000000004F4C: 0B28A994
	v_mul_f32_e32 v149, v149, v85                              // 000000004F50: 0B2AAB95
	v_mul_f32_e32 v150, v150, v86                              // 000000004F54: 0B2CAD96
	v_mul_f32_e32 v151, v151, v87                              // 000000004F58: 0B2EAF97
	s_waitcnt vmcnt(16)                                        // 000000004F5C: BF8C4F70
	buffer_load_dwordx4 a[48:51], v39, s[12:15], 0 offen       // 000000004F60: E05C1000 80833027
	v_mul_f32_e32 v50, v152, v152                              // 000000004F68: 0A653198
	v_mul_f32_e32 v51, v153, v153                              // 000000004F6C: 0A673399
	v_mul_f32_e32 v52, v154, v154                              // 000000004F70: 0A69359A
	v_mul_f32_e32 v53, v155, v155                              // 000000004F74: 0A6B379B
	v_fma_f32 v50, v50, s77, v1                                // 000000004F78: D1CB0032 04049B32
	v_fma_f32 v51, v51, s77, v1                                // 000000004F80: D1CB0033 04049B33
	v_fma_f32 v52, v52, s77, v1                                // 000000004F88: D1CB0034 04049B34
	v_fma_f32 v53, v53, s77, v1                                // 000000004F90: D1CB0035 04049B35
	v_mul_f32_e32 v50, v50, v152                               // 000000004F98: 0A653132
	v_mul_f32_e32 v51, v51, v153                               // 000000004F9C: 0A673333
	v_mul_f32_e32 v52, v52, v154                               // 000000004FA0: 0A693534
	v_mul_f32_e32 v53, v53, v155                               // 000000004FA4: 0A6B3735
	v_mul_f32_e64 v50, v50, s6                                 // 000000004FA8: D1050032 00000D32
	v_mul_f32_e64 v51, v51, s6                                 // 000000004FB0: D1050033 00000D33
	v_mul_f32_e64 v52, v52, s6                                 // 000000004FB8: D1050034 00000D34
	v_mul_f32_e64 v53, v53, s6                                 // 000000004FC0: D1050035 00000D35
	v_exp_f32_e32 v50, v50                                     // 000000004FC8: 7E644132
	v_exp_f32_e32 v51, v51                                     // 000000004FCC: 7E664133
	v_exp_f32_e32 v52, v52                                     // 000000004FD0: 7E684134
	v_exp_f32_e32 v53, v53                                     // 000000004FD4: 7E6A4135
	buffer_load_dwordx4 a[52:55], v40, s[12:15], 0 offen       // 000000004FD8: E05C1000 80833428
	v_add_f32_e64 v50, v50, 1.0                                // 000000004FE0: D1010032 0001E532
	v_add_f32_e64 v51, v51, 1.0                                // 000000004FE8: D1010033 0001E533
	v_add_f32_e64 v52, v52, 1.0                                // 000000004FF0: D1010034 0001E534
	v_add_f32_e64 v53, v53, 1.0                                // 000000004FF8: D1010035 0001E535
	v_rcp_f32_e32 v50, v50                                     // 000000005000: 7E644532
	v_rcp_f32_e32 v51, v51                                     // 000000005004: 7E664533
	v_rcp_f32_e32 v52, v52                                     // 000000005008: 7E684534
	v_rcp_f32_e32 v53, v53                                     // 00000000500C: 7E6A4535
	v_mul_f32_e32 v152, v152, v50                              // 000000005010: 0B306598
	v_mul_f32_e32 v153, v153, v51                              // 000000005014: 0B326799
	v_mul_f32_e32 v154, v154, v52                              // 000000005018: 0B34699A
	v_mul_f32_e32 v155, v155, v53                              // 00000000501C: 0B366B9B
	v_mul_f32_e32 v152, v152, v88                              // 000000005020: 0B30B198
	v_mul_f32_e32 v153, v153, v89                              // 000000005024: 0B32B399
	v_mul_f32_e32 v154, v154, v90                              // 000000005028: 0B34B59A
	v_mul_f32_e32 v155, v155, v91                              // 00000000502C: 0B36B79B
	buffer_load_dwordx4 a[56:59], v41, s[12:15], 0 offen       // 000000005030: E05C1000 80833829
	v_mul_f32_e32 v50, v156, v156                              // 000000005038: 0A65399C
	v_mul_f32_e32 v51, v157, v157                              // 00000000503C: 0A673B9D
	v_mul_f32_e32 v52, v158, v158                              // 000000005040: 0A693D9E
	v_mul_f32_e32 v53, v159, v159                              // 000000005044: 0A6B3F9F
	v_fma_f32 v50, v50, s77, v1                                // 000000005048: D1CB0032 04049B32
	v_fma_f32 v51, v51, s77, v1                                // 000000005050: D1CB0033 04049B33
	v_fma_f32 v52, v52, s77, v1                                // 000000005058: D1CB0034 04049B34
	v_fma_f32 v53, v53, s77, v1                                // 000000005060: D1CB0035 04049B35
	v_mul_f32_e32 v50, v50, v156                               // 000000005068: 0A653932
	v_mul_f32_e32 v51, v51, v157                               // 00000000506C: 0A673B33
	v_mul_f32_e32 v52, v52, v158                               // 000000005070: 0A693D34
	v_mul_f32_e32 v53, v53, v159                               // 000000005074: 0A6B3F35
	v_mul_f32_e64 v50, v50, s6                                 // 000000005078: D1050032 00000D32
	v_mul_f32_e64 v51, v51, s6                                 // 000000005080: D1050033 00000D33
	v_mul_f32_e64 v52, v52, s6                                 // 000000005088: D1050034 00000D34
	v_mul_f32_e64 v53, v53, s6                                 // 000000005090: D1050035 00000D35
	v_exp_f32_e32 v50, v50                                     // 000000005098: 7E644132
	v_exp_f32_e32 v51, v51                                     // 00000000509C: 7E664133
	v_exp_f32_e32 v52, v52                                     // 0000000050A0: 7E684134
	v_exp_f32_e32 v53, v53                                     // 0000000050A4: 7E6A4135
	buffer_load_dwordx4 a[60:63], v42, s[12:15], 0 offen       // 0000000050A8: E05C1000 80833C2A
	s_add_u32 s12, s78, s12                                    // 0000000050B0: 800C0C4E
	s_addc_u32 s13, 0, s13                                     // 0000000050B4: 820D0D80
	v_add_f32_e64 v50, v50, 1.0                                // 0000000050B8: D1010032 0001E532
	v_add_f32_e64 v51, v51, 1.0                                // 0000000050C0: D1010033 0001E533
	v_add_f32_e64 v52, v52, 1.0                                // 0000000050C8: D1010034 0001E534
	v_add_f32_e64 v53, v53, 1.0                                // 0000000050D0: D1010035 0001E535
	v_rcp_f32_e32 v50, v50                                     // 0000000050D8: 7E644532
	v_rcp_f32_e32 v51, v51                                     // 0000000050DC: 7E664533
	v_rcp_f32_e32 v52, v52                                     // 0000000050E0: 7E684534
	v_rcp_f32_e32 v53, v53                                     // 0000000050E4: 7E6A4535
	v_mul_f32_e32 v156, v156, v50                              // 0000000050E8: 0B38659C
	v_mul_f32_e32 v157, v157, v51                              // 0000000050EC: 0B3A679D
	v_mul_f32_e32 v158, v158, v52                              // 0000000050F0: 0B3C699E
	v_mul_f32_e32 v159, v159, v53                              // 0000000050F4: 0B3E6B9F
	v_mul_f32_e32 v156, v156, v92                              // 0000000050F8: 0B38B99C
	v_mul_f32_e32 v157, v157, v93                              // 0000000050FC: 0B3ABB9D
	v_mul_f32_e32 v158, v158, v94                              // 000000005100: 0B3CBD9E
	v_mul_f32_e32 v159, v159, v95                              // 000000005104: 0B3EBF9F
	s_waitcnt vmcnt(16)                                        // 000000005108: BF8C4F70
	buffer_load_dwordx4 a[64:67], v39, s[12:15], 0 offen       // 00000000510C: E05C1000 80834027
	v_mul_f32_e32 v50, v160, v160                              // 000000005114: 0A6541A0
	v_mul_f32_e32 v51, v161, v161                              // 000000005118: 0A6743A1
	v_mul_f32_e32 v52, v162, v162                              // 00000000511C: 0A6945A2
	v_mul_f32_e32 v53, v163, v163                              // 000000005120: 0A6B47A3
	v_fma_f32 v50, v50, s77, v1                                // 000000005124: D1CB0032 04049B32
	v_fma_f32 v51, v51, s77, v1                                // 00000000512C: D1CB0033 04049B33
	v_fma_f32 v52, v52, s77, v1                                // 000000005134: D1CB0034 04049B34
	v_fma_f32 v53, v53, s77, v1                                // 00000000513C: D1CB0035 04049B35
	v_mul_f32_e32 v50, v50, v160                               // 000000005144: 0A654132
	v_mul_f32_e32 v51, v51, v161                               // 000000005148: 0A674333
	v_mul_f32_e32 v52, v52, v162                               // 00000000514C: 0A694534
	v_mul_f32_e32 v53, v53, v163                               // 000000005150: 0A6B4735
	v_mul_f32_e64 v50, v50, s6                                 // 000000005154: D1050032 00000D32
	v_mul_f32_e64 v51, v51, s6                                 // 00000000515C: D1050033 00000D33
	v_mul_f32_e64 v52, v52, s6                                 // 000000005164: D1050034 00000D34
	v_mul_f32_e64 v53, v53, s6                                 // 00000000516C: D1050035 00000D35
	v_exp_f32_e32 v50, v50                                     // 000000005174: 7E644132
	v_exp_f32_e32 v51, v51                                     // 000000005178: 7E664133
	v_exp_f32_e32 v52, v52                                     // 00000000517C: 7E684134
	v_exp_f32_e32 v53, v53                                     // 000000005180: 7E6A4135
	buffer_load_dwordx4 a[68:71], v40, s[12:15], 0 offen       // 000000005184: E05C1000 80834428
	v_add_f32_e64 v50, v50, 1.0                                // 00000000518C: D1010032 0001E532
	v_add_f32_e64 v51, v51, 1.0                                // 000000005194: D1010033 0001E533
	v_add_f32_e64 v52, v52, 1.0                                // 00000000519C: D1010034 0001E534
	v_add_f32_e64 v53, v53, 1.0                                // 0000000051A4: D1010035 0001E535
	v_rcp_f32_e32 v50, v50                                     // 0000000051AC: 7E644532
	v_rcp_f32_e32 v51, v51                                     // 0000000051B0: 7E664533
	v_rcp_f32_e32 v52, v52                                     // 0000000051B4: 7E684534
	v_rcp_f32_e32 v53, v53                                     // 0000000051B8: 7E6A4535
	v_mul_f32_e32 v160, v160, v50                              // 0000000051BC: 0B4065A0
	v_mul_f32_e32 v161, v161, v51                              // 0000000051C0: 0B4267A1
	v_mul_f32_e32 v162, v162, v52                              // 0000000051C4: 0B4469A2
	v_mul_f32_e32 v163, v163, v53                              // 0000000051C8: 0B466BA3
	v_mul_f32_e32 v160, v160, v96                              // 0000000051CC: 0B40C1A0
	v_mul_f32_e32 v161, v161, v97                              // 0000000051D0: 0B42C3A1
	v_mul_f32_e32 v162, v162, v98                              // 0000000051D4: 0B44C5A2
	v_mul_f32_e32 v163, v163, v99                              // 0000000051D8: 0B46C7A3
	buffer_load_dwordx4 a[72:75], v41, s[12:15], 0 offen       // 0000000051DC: E05C1000 80834829
	v_mul_f32_e32 v50, v164, v164                              // 0000000051E4: 0A6549A4
	v_mul_f32_e32 v51, v165, v165                              // 0000000051E8: 0A674BA5
	v_mul_f32_e32 v52, v166, v166                              // 0000000051EC: 0A694DA6
	v_mul_f32_e32 v53, v167, v167                              // 0000000051F0: 0A6B4FA7
	v_fma_f32 v50, v50, s77, v1                                // 0000000051F4: D1CB0032 04049B32
	v_fma_f32 v51, v51, s77, v1                                // 0000000051FC: D1CB0033 04049B33
	v_fma_f32 v52, v52, s77, v1                                // 000000005204: D1CB0034 04049B34
	v_fma_f32 v53, v53, s77, v1                                // 00000000520C: D1CB0035 04049B35
	v_mul_f32_e32 v50, v50, v164                               // 000000005214: 0A654932
	v_mul_f32_e32 v51, v51, v165                               // 000000005218: 0A674B33
	v_mul_f32_e32 v52, v52, v166                               // 00000000521C: 0A694D34
	v_mul_f32_e32 v53, v53, v167                               // 000000005220: 0A6B4F35
	v_mul_f32_e64 v50, v50, s6                                 // 000000005224: D1050032 00000D32
	v_mul_f32_e64 v51, v51, s6                                 // 00000000522C: D1050033 00000D33
	v_mul_f32_e64 v52, v52, s6                                 // 000000005234: D1050034 00000D34
	v_mul_f32_e64 v53, v53, s6                                 // 00000000523C: D1050035 00000D35
	v_exp_f32_e32 v50, v50                                     // 000000005244: 7E644132
	v_exp_f32_e32 v51, v51                                     // 000000005248: 7E664133
	v_exp_f32_e32 v52, v52                                     // 00000000524C: 7E684134
	v_exp_f32_e32 v53, v53                                     // 000000005250: 7E6A4135
	buffer_load_dwordx4 a[76:79], v42, s[12:15], 0 offen       // 000000005254: E05C1000 80834C2A
	v_add_f32_e64 v50, v50, 1.0                                // 00000000525C: D1010032 0001E532
	v_add_f32_e64 v51, v51, 1.0                                // 000000005264: D1010033 0001E533
	v_add_f32_e64 v52, v52, 1.0                                // 00000000526C: D1010034 0001E534
	v_add_f32_e64 v53, v53, 1.0                                // 000000005274: D1010035 0001E535
	v_rcp_f32_e32 v50, v50                                     // 00000000527C: 7E644532
	v_rcp_f32_e32 v51, v51                                     // 000000005280: 7E664533
	v_rcp_f32_e32 v52, v52                                     // 000000005284: 7E684534
	v_rcp_f32_e32 v53, v53                                     // 000000005288: 7E6A4535
	v_mul_f32_e32 v164, v164, v50                              // 00000000528C: 0B4865A4
	v_mul_f32_e32 v165, v165, v51                              // 000000005290: 0B4A67A5
	v_mul_f32_e32 v166, v166, v52                              // 000000005294: 0B4C69A6
	v_mul_f32_e32 v167, v167, v53                              // 000000005298: 0B4E6BA7
	v_mul_f32_e32 v164, v164, v100                             // 00000000529C: 0B48C9A4
	v_mul_f32_e32 v165, v165, v101                             // 0000000052A0: 0B4ACBA5
	v_mul_f32_e32 v166, v166, v102                             // 0000000052A4: 0B4CCDA6
	v_mul_f32_e32 v167, v167, v103                             // 0000000052A8: 0B4ECFA7
	v_lshlrev_b32_e32 v50, 2, v0                               // 0000000052AC: 24640082
	s_mul_i32 s60, s82, s71                                    // 0000000052B0: 923C4752
	v_add_u32_e64 v80, v50, s60                                // 0000000052B4: D1340050 00007932
	v_mov_b32_e32 v81, 0                                       // 0000000052BC: 7EA20280
	s_mul_i32 s60, s83, s71                                    // 0000000052C0: 923C4753
	v_add_u32_e64 v82, v50, s60                                // 0000000052C4: D1340052 00007932
	v_mov_b32_e32 v83, 0                                       // 0000000052CC: 7EA60280
	s_mul_i32 s60, s84, s71                                    // 0000000052D0: 923C4754
	v_add_u32_e64 v84, v50, s60                                // 0000000052D4: D1340054 00007932
	v_mov_b32_e32 v85, 0                                       // 0000000052DC: 7EAA0280
	s_mul_i32 s60, s85, s71                                    // 0000000052E0: 923C4755
	v_add_u32_e64 v86, v50, s60                                // 0000000052E4: D1340056 00007932
	v_mov_b32_e32 v87, 0                                       // 0000000052EC: 7EAE0280
	s_mul_i32 s60, s86, s71                                    // 0000000052F0: 923C4756
	v_add_u32_e64 v88, v50, s60                                // 0000000052F4: D1340058 00007932
	v_mov_b32_e32 v89, 0                                       // 0000000052FC: 7EB20280
	s_mul_i32 s60, s87, s71                                    // 000000005300: 923C4757
	v_add_u32_e64 v90, v50, s60                                // 000000005304: D134005A 00007932
	v_mov_b32_e32 v91, 0                                       // 00000000530C: 7EB60280
	s_mul_i32 s60, s88, s71                                    // 000000005310: 923C4758
	v_add_u32_e64 v92, v50, s60                                // 000000005314: D134005C 00007932
	v_mov_b32_e32 v93, 0                                       // 00000000531C: 7EBA0280
	s_mul_i32 s60, s89, s71                                    // 000000005320: 923C4759
	v_add_u32_e64 v94, v50, s60                                // 000000005324: D134005E 00007932
	v_mov_b32_e32 v95, 0                                       // 00000000532C: 7EBE0280
	buffer_load_dword v12, v5, s[16:19], 0 offen               // 000000005330: E0501000 80040C05
	v_mov_b32_e32 v22, 0x358637bd                              // 000000005338: 7E2C02FF 358637BD
	v_mov_b32_e32 v23, 0x358637bd                              // 000000005340: 7E2E02FF 358637BD
	v_max3_f32 v22, |v128|, |v129|, v22                        // 000000005348: D1D30316 045B0380
	v_max3_f32 v22, |v130|, |v131|, v22                        // 000000005350: D1D30316 045B0782
	v_max3_f32 v23, |v132|, |v133|, v23                        // 000000005358: D1D30317 045F0B84
	v_max3_f32 v23, |v134|, |v135|, v23                        // 000000005360: D1D30317 045F0F86
	v_max3_f32 v22, |v136|, |v137|, v22                        // 000000005368: D1D30316 045B1388
	v_max3_f32 v22, |v138|, |v139|, v22                        // 000000005370: D1D30316 045B178A
	v_max3_f32 v23, |v140|, |v141|, v23                        // 000000005378: D1D30317 045F1B8C
	v_max3_f32 v23, |v142|, |v143|, v23                        // 000000005380: D1D30317 045F1F8E
	v_max3_f32 v22, |v144|, |v145|, v22                        // 000000005388: D1D30316 045B2390
	v_max3_f32 v22, |v146|, |v147|, v22                        // 000000005390: D1D30316 045B2792
	v_max3_f32 v23, |v148|, |v149|, v23                        // 000000005398: D1D30317 045F2B94
	v_max3_f32 v23, |v150|, |v151|, v23                        // 0000000053A0: D1D30317 045F2F96
	v_max3_f32 v22, |v152|, |v153|, v22                        // 0000000053A8: D1D30316 045B3398
	v_max3_f32 v22, |v154|, |v155|, v22                        // 0000000053B0: D1D30316 045B379A
	v_max3_f32 v23, |v156|, |v157|, v23                        // 0000000053B8: D1D30317 045F3B9C
	v_max3_f32 v23, |v158|, |v159|, v23                        // 0000000053C0: D1D30317 045F3F9E
	v_max3_f32 v22, |v160|, |v161|, v22                        // 0000000053C8: D1D30316 045B43A0
	v_max3_f32 v22, |v162|, |v163|, v22                        // 0000000053D0: D1D30316 045B47A2
	v_max3_f32 v23, |v164|, |v165|, v23                        // 0000000053D8: D1D30317 045F4BA4
	v_max3_f32 v23, |v166|, |v167|, v23                        // 0000000053E0: D1D30317 045F4FA6
	v_lshlrev_b32_e32 v50, 3, v0                               // 0000000053E8: 24640083
	s_mul_i32 s60, 0x200, s7                                   // 0000000053EC: 923C07FF 00000200
	v_add_u32_e32 v50, s60, v50                                // 0000000053F4: 6864643C
	ds_write_b64 v50, v[22:23] offset:16640                    // 0000000053F8: D89A4100 00001632
	s_waitcnt lgkmcnt(0)                                       // 000000005400: BF8CC07F
	s_barrier                                                  // 000000005404: BF8A0000
	v_and_b32_e32 v50, 15, v0                                  // 000000005408: 2664008F
	v_lshlrev_b32_e32 v50, 3, v50                              // 00000000540C: 24646483
	ds_read_b64 v[96:97], v50 offset:16640                     // 000000005410: D8EC4100 60000032
	ds_read_b64 v[98:99], v50 offset:16768                     // 000000005418: D8EC4180 62000032
	ds_read_b64 v[100:101], v50 offset:16896                   // 000000005420: D8EC4200 64000032
	ds_read_b64 v[102:103], v50 offset:17024                   // 000000005428: D8EC4280 66000032
	ds_read_b64 v[104:105], v50 offset:17152                   // 000000005430: D8EC4300 68000032
	ds_read_b64 v[106:107], v50 offset:17280                   // 000000005438: D8EC4380 6A000032
	ds_read_b64 v[108:109], v50 offset:17408                   // 000000005440: D8EC4400 6C000032
	ds_read_b64 v[110:111], v50 offset:17536                   // 000000005448: D8EC4480 6E000032
	ds_read_b64 v[112:113], v50 offset:17664                   // 000000005450: D8EC4500 70000032
	ds_read_b64 v[114:115], v50 offset:17792                   // 000000005458: D8EC4580 72000032
	ds_read_b64 v[116:117], v50 offset:17920                   // 000000005460: D8EC4600 74000032
	ds_read_b64 v[118:119], v50 offset:18048                   // 000000005468: D8EC4680 76000032
	ds_read_b64 v[120:121], v50 offset:18176                   // 000000005470: D8EC4700 78000032
	ds_read_b64 v[122:123], v50 offset:18304                   // 000000005478: D8EC4780 7A000032
	ds_read_b64 v[124:125], v50 offset:18432                   // 000000005480: D8EC4800 7C000032
	ds_read_b64 v[126:127], v50 offset:18560                   // 000000005488: D8EC4880 7E000032
	s_waitcnt lgkmcnt(0)                                       // 000000005490: BF8CC07F
	v_max3_f32 v22, |v96|, |v98|, v22                          // 000000005494: D1D30316 045AC560
	v_max3_f32 v23, |v97|, |v99|, v23                          // 00000000549C: D1D30317 045EC761
	v_max3_f32 v22, |v100|, |v102|, v22                        // 0000000054A4: D1D30316 045ACD64
	v_max3_f32 v23, |v101|, |v103|, v23                        // 0000000054AC: D1D30317 045ECF65
	v_max3_f32 v22, |v104|, |v106|, v22                        // 0000000054B4: D1D30316 045AD568
	v_max3_f32 v23, |v105|, |v107|, v23                        // 0000000054BC: D1D30317 045ED769
	v_max3_f32 v22, |v108|, |v110|, v22                        // 0000000054C4: D1D30316 045ADD6C
	v_max3_f32 v23, |v109|, |v111|, v23                        // 0000000054CC: D1D30317 045EDF6D
	v_max3_f32 v22, |v112|, |v114|, v22                        // 0000000054D4: D1D30316 045AE570
	v_max3_f32 v23, |v113|, |v115|, v23                        // 0000000054DC: D1D30317 045EE771
	v_max3_f32 v22, |v116|, |v118|, v22                        // 0000000054E4: D1D30316 045AED74
	v_max3_f32 v23, |v117|, |v119|, v23                        // 0000000054EC: D1D30317 045EEF75
	v_max3_f32 v22, |v120|, |v122|, v22                        // 0000000054F4: D1D30316 045AF578
	v_max3_f32 v23, |v121|, |v123|, v23                        // 0000000054FC: D1D30317 045EF779
	v_max3_f32 v22, |v124|, |v126|, v22                        // 000000005504: D1D30316 045AFD7C
	v_max3_f32 v23, |v125|, |v127|, v23                        // 00000000550C: D1D30317 045EFF7D
	v_rcp_f32_e32 v22, v22                                     // 000000005514: 7E2C4516
	v_rcp_f32_e32 v23, v23                                     // 000000005518: 7E2E4517
	v_mov_b32_e32 v50, 0x43e00000                              // 00000000551C: 7E6402FF 43E00000
	v_mul_f32_e32 v22, v50, v22                                // 000000005524: 0A2C2D32
	v_mul_f32_e32 v23, v50, v23                                // 000000005528: 0A2E2F32
	v_mul_f32_e32 v128, v22, v128                              // 00000000552C: 0B010116
	v_mul_f32_e32 v129, v22, v129                              // 000000005530: 0B030316
	v_mul_f32_e32 v130, v22, v130                              // 000000005534: 0B050516
	v_mul_f32_e32 v131, v22, v131                              // 000000005538: 0B070716
	v_cvt_pk_fp8_f32 v128, v128, v129                          // 00000000553C: D2A20080 00030380
	v_cvt_pk_fp8_f32 v128, v130, v131 op_sel:[0,0,1]           // 000000005544: D2A24080 00030782
	v_mul_f32_e32 v132, v23, v132                              // 00000000554C: 0B090917
	v_mul_f32_e32 v133, v23, v133                              // 000000005550: 0B0B0B17
	v_mul_f32_e32 v134, v23, v134                              // 000000005554: 0B0D0D17
	v_mul_f32_e32 v135, v23, v135                              // 000000005558: 0B0F0F17
	v_cvt_pk_fp8_f32 v129, v132, v133                          // 00000000555C: D2A20081 00030B84
	v_cvt_pk_fp8_f32 v129, v134, v135 op_sel:[0,0,1]           // 000000005564: D2A24081 00030F86
	v_mul_f32_e32 v136, v22, v136                              // 00000000556C: 0B111116
	v_mul_f32_e32 v137, v22, v137                              // 000000005570: 0B131316
	v_mul_f32_e32 v138, v22, v138                              // 000000005574: 0B151516
	v_mul_f32_e32 v139, v22, v139                              // 000000005578: 0B171716
	v_cvt_pk_fp8_f32 v130, v136, v137                          // 00000000557C: D2A20082 00031388
	v_cvt_pk_fp8_f32 v130, v138, v139 op_sel:[0,0,1]           // 000000005584: D2A24082 0003178A
	v_mul_f32_e32 v140, v23, v140                              // 00000000558C: 0B191917
	v_mul_f32_e32 v141, v23, v141                              // 000000005590: 0B1B1B17
	v_mul_f32_e32 v142, v23, v142                              // 000000005594: 0B1D1D17
	v_mul_f32_e32 v143, v23, v143                              // 000000005598: 0B1F1F17
	v_cvt_pk_fp8_f32 v131, v140, v141                          // 00000000559C: D2A20083 00031B8C
	v_cvt_pk_fp8_f32 v131, v142, v143 op_sel:[0,0,1]           // 0000000055A4: D2A24083 00031F8E
	v_mul_f32_e32 v144, v22, v144                              // 0000000055AC: 0B212116
	v_mul_f32_e32 v145, v22, v145                              // 0000000055B0: 0B232316
	v_mul_f32_e32 v146, v22, v146                              // 0000000055B4: 0B252516
	v_mul_f32_e32 v147, v22, v147                              // 0000000055B8: 0B272716
	v_cvt_pk_fp8_f32 v132, v144, v145                          // 0000000055BC: D2A20084 00032390
	v_cvt_pk_fp8_f32 v132, v146, v147 op_sel:[0,0,1]           // 0000000055C4: D2A24084 00032792
	v_mul_f32_e32 v148, v23, v148                              // 0000000055CC: 0B292917
	v_mul_f32_e32 v149, v23, v149                              // 0000000055D0: 0B2B2B17
	v_mul_f32_e32 v150, v23, v150                              // 0000000055D4: 0B2D2D17
	v_mul_f32_e32 v151, v23, v151                              // 0000000055D8: 0B2F2F17
	v_cvt_pk_fp8_f32 v133, v148, v149                          // 0000000055DC: D2A20085 00032B94
	v_cvt_pk_fp8_f32 v133, v150, v151 op_sel:[0,0,1]           // 0000000055E4: D2A24085 00032F96
	v_mul_f32_e32 v152, v22, v152                              // 0000000055EC: 0B313116
	v_mul_f32_e32 v153, v22, v153                              // 0000000055F0: 0B333316
	v_mul_f32_e32 v154, v22, v154                              // 0000000055F4: 0B353516
	v_mul_f32_e32 v155, v22, v155                              // 0000000055F8: 0B373716
	v_cvt_pk_fp8_f32 v134, v152, v153                          // 0000000055FC: D2A20086 00033398
	v_cvt_pk_fp8_f32 v134, v154, v155 op_sel:[0,0,1]           // 000000005604: D2A24086 0003379A
	v_mul_f32_e32 v156, v23, v156                              // 00000000560C: 0B393917
	v_mul_f32_e32 v157, v23, v157                              // 000000005610: 0B3B3B17
	v_mul_f32_e32 v158, v23, v158                              // 000000005614: 0B3D3D17
	v_mul_f32_e32 v159, v23, v159                              // 000000005618: 0B3F3F17
	v_cvt_pk_fp8_f32 v135, v156, v157                          // 00000000561C: D2A20087 00033B9C
	v_cvt_pk_fp8_f32 v135, v158, v159 op_sel:[0,0,1]           // 000000005624: D2A24087 00033F9E
	v_mul_f32_e32 v160, v22, v160                              // 00000000562C: 0B414116
	v_mul_f32_e32 v161, v22, v161                              // 000000005630: 0B434316
	v_mul_f32_e32 v162, v22, v162                              // 000000005634: 0B454516
	v_mul_f32_e32 v163, v22, v163                              // 000000005638: 0B474716
	v_cvt_pk_fp8_f32 v136, v160, v161                          // 00000000563C: D2A20088 000343A0
	v_cvt_pk_fp8_f32 v136, v162, v163 op_sel:[0,0,1]           // 000000005644: D2A24088 000347A2
	v_mul_f32_e32 v164, v23, v164                              // 00000000564C: 0B494917
	v_mul_f32_e32 v165, v23, v165                              // 000000005650: 0B4B4B17
	v_mul_f32_e32 v166, v23, v166                              // 000000005654: 0B4D4D17
	v_mul_f32_e32 v167, v23, v167                              // 000000005658: 0B4F4F17
	v_cvt_pk_fp8_f32 v137, v164, v165                          // 00000000565C: D2A20089 00034BA4
	v_cvt_pk_fp8_f32 v137, v166, v167 op_sel:[0,0,1]           // 000000005664: D2A24089 00034FA6
	v_rcp_f32_e32 v24, v22                                     // 00000000566C: 7E304516
	v_rcp_f32_e32 v25, v23                                     // 000000005670: 7E324517
	v_lshrrev_b32_e32 v50, 5, v0                               // 000000005674: 20640085
	v_lshlrev_b32_e32 v51, 5, v50                              // 000000005678: 24666485
	v_and_b32_e32 v50, 31, v0                                  // 00000000567C: 2664009F
	v_lshrrev_b32_e32 v52, 4, v50                              // 000000005680: 20686484
	v_add_u32_e32 v51, v52, v51                                // 000000005684: 68666734
	v_and_b32_e32 v50, 15, v0                                  // 000000005688: 2664008F
	v_lshlrev_b32_e32 v50, 1, v50                              // 00000000568C: 24646481
	v_add_u32_e32 v51, v50, v51                                // 000000005690: 68666732
	v_lshlrev_b32_e32 v50, 2, v51                              // 000000005694: 24646682
	s_mul_i32 s60, 0x100, s7                                   // 000000005698: 923C07FF 00000100
	v_add_u32_e64 v50, v50, s60                                // 0000000056A0: D1340032 00007932
	ds_write_b32 v50, v128 offset:18688                        // 0000000056A8: D81A4900 00008032
	ds_write_b32 v50, v129 offset:23808                        // 0000000056B0: D81A5D00 00008132
	ds_write_b32 v50, v130 offset:19712                        // 0000000056B8: D81A4D00 00008232
	ds_write_b32 v50, v131 offset:24832                        // 0000000056C0: D81A6100 00008332
	ds_write_b32 v50, v132 offset:20736                        // 0000000056C8: D81A5100 00008432
	ds_write_b32 v50, v133 offset:25856                        // 0000000056D0: D81A6500 00008532
	ds_write_b32 v50, v134 offset:21760                        // 0000000056D8: D81A5500 00008632
	ds_write_b32 v50, v135 offset:26880                        // 0000000056E0: D81A6900 00008732
	ds_write_b32 v50, v136 offset:22784                        // 0000000056E8: D81A5900 00008832
	ds_write_b32 v50, v137 offset:27904                        // 0000000056F0: D81A6D00 00008932
	s_waitcnt lgkmcnt(0)                                       // 0000000056F8: BF8CC07F
	s_barrier                                                  // 0000000056FC: BF8A0000
	v_lshrrev_b32_e32 v50, 4, v0                               // 000000005700: 20640084
	v_lshlrev_b32_e32 v51, 6, v50                              // 000000005704: 24666486
	v_and_b32_e32 v50, 15, v0                                  // 000000005708: 2664008F
	v_lshlrev_b32_e32 v50, 1, v50                              // 00000000570C: 24646481
	v_add_u32_e32 v51, v50, v51                                // 000000005710: 68666732
	v_lshlrev_b32_e32 v50, 2, v51                              // 000000005714: 24646682
	ds_read_b64 v[128:129], v50 offset:18688                   // 000000005718: D8EC4900 80000032
	ds_read_b64 v[130:131], v50 offset:18816                   // 000000005720: D8EC4980 82000032
	ds_read_b64 v[132:133], v50 offset:19712                   // 000000005728: D8EC4D00 84000032
	ds_read_b64 v[134:135], v50 offset:19840                   // 000000005730: D8EC4D80 86000032
	ds_read_b64 v[136:137], v50 offset:20736                   // 000000005738: D8EC5100 88000032
	ds_read_b64 v[138:139], v50 offset:20864                   // 000000005740: D8EC5180 8A000032
	ds_read_b64 v[140:141], v50 offset:21760                   // 000000005748: D8EC5500 8C000032
	ds_read_b64 v[142:143], v50 offset:21888                   // 000000005750: D8EC5580 8E000032
	ds_read_b64 v[144:145], v50 offset:22784                   // 000000005758: D8EC5900 90000032
	ds_read_b64 v[146:147], v50 offset:22912                   // 000000005760: D8EC5980 92000032
	ds_read_b64 v[148:149], v50 offset:23808                   // 000000005768: D8EC5D00 94000032
	ds_read_b64 v[150:151], v50 offset:23936                   // 000000005770: D8EC5D80 96000032
	ds_read_b64 v[152:153], v50 offset:24832                   // 000000005778: D8EC6100 98000032
	ds_read_b64 v[154:155], v50 offset:24960                   // 000000005780: D8EC6180 9A000032
	ds_read_b64 v[156:157], v50 offset:25856                   // 000000005788: D8EC6500 9C000032
	ds_read_b64 v[158:159], v50 offset:25984                   // 000000005790: D8EC6580 9E000032
	ds_read_b64 v[160:161], v50 offset:26880                   // 000000005798: D8EC6900 A0000032
	ds_read_b64 v[162:163], v50 offset:27008                   // 0000000057A0: D8EC6980 A2000032
	ds_read_b64 v[164:165], v50 offset:27904                   // 0000000057A8: D8EC6D00 A4000032
	ds_read_b64 v[166:167], v50 offset:28032                   // 0000000057B0: D8EC6D80 A6000032
	s_add_u32 s12, s56, s12                                    // 0000000057B8: 800C0C38
	s_addc_u32 s13, 0, s13                                     // 0000000057BC: 820D0D80
	s_add_u32 s16, s79, s16                                    // 0000000057C0: 8010104F
	s_addc_u32 s17, 0, s17                                     // 0000000057C4: 82111180
	s_waitcnt lgkmcnt(0)                                       // 0000000057C8: BF8CC07F
	s_barrier                                                  // 0000000057CC: BF8A0000
	v_mov_b32_e32 v168, 0                                      // 0000000057D0: 7F500280
	v_mov_b32_e32 v200, 0                                      // 0000000057D4: 7F900280
	v_mov_b32_e32 v169, 0                                      // 0000000057D8: 7F520280
	v_mov_b32_e32 v201, 0                                      // 0000000057DC: 7F920280
	v_mov_b32_e32 v170, 0                                      // 0000000057E0: 7F540280
	v_mov_b32_e32 v202, 0                                      // 0000000057E4: 7F940280
	v_mov_b32_e32 v171, 0                                      // 0000000057E8: 7F560280
	v_mov_b32_e32 v203, 0                                      // 0000000057EC: 7F960280
	v_mov_b32_e32 v172, 0                                      // 0000000057F0: 7F580280
	v_mov_b32_e32 v204, 0                                      // 0000000057F4: 7F980280
	v_mov_b32_e32 v173, 0                                      // 0000000057F8: 7F5A0280
	v_mov_b32_e32 v205, 0                                      // 0000000057FC: 7F9A0280
	v_mov_b32_e32 v174, 0                                      // 000000005800: 7F5C0280
	v_mov_b32_e32 v206, 0                                      // 000000005804: 7F9C0280
	v_mov_b32_e32 v175, 0                                      // 000000005808: 7F5E0280
	v_mov_b32_e32 v207, 0                                      // 00000000580C: 7F9E0280
	v_mov_b32_e32 v176, 0                                      // 000000005810: 7F600280
	v_mov_b32_e32 v208, 0                                      // 000000005814: 7FA00280
	v_mov_b32_e32 v177, 0                                      // 000000005818: 7F620280
	v_mov_b32_e32 v209, 0                                      // 00000000581C: 7FA20280
	v_mov_b32_e32 v178, 0                                      // 000000005820: 7F640280
	v_mov_b32_e32 v210, 0                                      // 000000005824: 7FA40280
	v_mov_b32_e32 v179, 0                                      // 000000005828: 7F660280
	v_mov_b32_e32 v211, 0                                      // 00000000582C: 7FA60280
	v_mov_b32_e32 v180, 0                                      // 000000005830: 7F680280
	v_mov_b32_e32 v212, 0                                      // 000000005834: 7FA80280
	v_mov_b32_e32 v181, 0                                      // 000000005838: 7F6A0280
	v_mov_b32_e32 v213, 0                                      // 00000000583C: 7FAA0280
	v_mov_b32_e32 v182, 0                                      // 000000005840: 7F6C0280
	v_mov_b32_e32 v214, 0                                      // 000000005844: 7FAC0280
	v_mov_b32_e32 v183, 0                                      // 000000005848: 7F6E0280
	v_mov_b32_e32 v215, 0                                      // 00000000584C: 7FAE0280
	ds_write_b64 v3, v[168:169] offset:18688                   // 000000005850: D89A4900 0000A803
	ds_write_b64 v3, v[170:171] offset:27392                   // 000000005858: D89A6B00 0000AA03
	ds_write_b64 v3, v[172:173] offset:20864                   // 000000005860: D89A5180 0000AC03
	ds_write_b64 v3, v[174:175] offset:29568                   // 000000005868: D89A7380 0000AE03
	ds_write_b64 v3, v[176:177] offset:23040                   // 000000005870: D89A5A00 0000B003
	ds_write_b64 v3, v[178:179] offset:31744                   // 000000005878: D89A7C00 0000B203
	ds_write_b64 v3, v[180:181] offset:25216                   // 000000005880: D89A6280 0000B403
	ds_write_b64 v3, v[182:183] offset:33920                   // 000000005888: D89A8480 0000B603
	s_mov_b32 s80, 0                                           // 000000005890: BED00080
	s_waitcnt vmcnt(0) expcnt(0) lgkmcnt(0)                    // 000000005894: BF8C0000

0000000000005898 <label_0AA6>:
	s_waitcnt vmcnt(17) lgkmcnt(0)                             // 000000005898: BF8C4071
	s_barrier                                                  // 00000000589C: BF8A0000
	v_mfma_f32_16x16x32_fp8_fp8 v[168:171], a[0:1], v[128:129], 0// 0000000058A0: D3F300A8 0A030100
	ds_read_b32 v64, v4 offset:18688                           // 0000000058A8: D86C4900 40000004
	ds_read_b32 v65, v4 offset:23040                           // 0000000058B0: D86C5A00 41000004
	v_mfma_f32_16x16x32_fp8_fp8 v[168:171], a[2:3], v[130:131], v[168:171]// 0000000058B8: D3F300A8 0EA30502
	buffer_load_dwordx4 a[80:83], v39, s[12:15], 0 offen       // 0000000058C0: E05C1000 80835027
	v_mfma_f32_16x16x32_fp8_fp8 v[172:175], a[0:1], v[148:149], 0// 0000000058C8: D3F300AC 0A032900
	ds_read_b32 v66, v4 offset:18720                           // 0000000058D0: D86C4920 42000004
	ds_read_b32 v67, v4 offset:23072                           // 0000000058D8: D86C5A20 43000004
	v_mfma_f32_16x16x32_fp8_fp8 v[172:175], a[2:3], v[150:151], v[172:175]// 0000000058E0: D3F300AC 0EB32D02
	v_mfma_f32_16x16x32_fp8_fp8 v[176:179], a[4:5], v[128:129], 0// 0000000058E8: D3F300B0 0A030104
	ds_read_b32 v68, v4 offset:18752                           // 0000000058F0: D86C4940 44000004
	ds_read_b32 v69, v4 offset:23104                           // 0000000058F8: D86C5A40 45000004
	v_mfma_f32_16x16x32_fp8_fp8 v[176:179], a[6:7], v[130:131], v[176:179]// 000000005900: D3F300B0 0EC30506
	buffer_load_dwordx4 a[84:87], v40, s[12:15], 0 offen       // 000000005908: E05C1000 80835428
	v_mfma_f32_16x16x32_fp8_fp8 v[180:183], a[4:5], v[148:149], 0// 000000005910: D3F300B4 0A032904
	ds_read_b32 v70, v4 offset:18784                           // 000000005918: D86C4960 46000004
	ds_read_b32 v71, v4 offset:23136                           // 000000005920: D86C5A60 47000004
	v_mfma_f32_16x16x32_fp8_fp8 v[180:183], a[6:7], v[150:151], v[180:183]// 000000005928: D3F300B4 0ED32D06
	v_mfma_f32_16x16x32_fp8_fp8 v[184:187], a[8:9], v[128:129], 0// 000000005930: D3F300B8 0A030108
	ds_read_b32 v72, v4 offset:27392                           // 000000005938: D86C6B00 48000004
	ds_read_b32 v73, v4 offset:31744                           // 000000005940: D86C7C00 49000004
	v_mfma_f32_16x16x32_fp8_fp8 v[184:187], a[10:11], v[130:131], v[184:187]// 000000005948: D3F300B8 0EE3050A
	buffer_load_dwordx4 a[88:91], v41, s[12:15], 0 offen       // 000000005950: E05C1000 80835829
	v_mfma_f32_16x16x32_fp8_fp8 v[188:191], a[8:9], v[148:149], 0// 000000005958: D3F300BC 0A032908
	ds_read_b32 v74, v4 offset:27424                           // 000000005960: D86C6B20 4A000004
	ds_read_b32 v75, v4 offset:31776                           // 000000005968: D86C7C20 4B000004
	v_mfma_f32_16x16x32_fp8_fp8 v[188:191], a[10:11], v[150:151], v[188:191]// 000000005970: D3F300BC 0EF32D0A
	v_mfma_f32_16x16x32_fp8_fp8 v[192:195], a[12:13], v[128:129], 0// 000000005978: D3F300C0 0A03010C
	ds_read_b32 v76, v4 offset:27456                           // 000000005980: D86C6B40 4C000004
	ds_read_b32 v77, v4 offset:31808                           // 000000005988: D86C7C40 4D000004
	v_mfma_f32_16x16x32_fp8_fp8 v[192:195], a[14:15], v[130:131], v[192:195]// 000000005990: D3F300C0 0F03050E
	buffer_load_dwordx4 a[92:95], v42, s[12:15], 0 offen       // 000000005998: E05C1000 80835C2A
	s_add_u32 s12, s78, s12                                    // 0000000059A0: 800C0C4E
	s_addc_u32 s13, 0, s13                                     // 0000000059A4: 820D0D80
	v_mfma_f32_16x16x32_fp8_fp8 v[196:199], a[12:13], v[148:149], 0// 0000000059A8: D3F300C4 0A03290C
	ds_read_b32 v78, v4 offset:27488                           // 0000000059B0: D86C6B60 4E000004
	ds_read_b32 v79, v4 offset:31840                           // 0000000059B8: D86C7C60 4F000004
	v_mfma_f32_16x16x32_fp8_fp8 v[196:199], a[14:15], v[150:151], v[196:199]// 0000000059C0: D3F300C4 0F132D0E
	s_waitcnt vmcnt(17)                                        // 0000000059C8: BF8C4F71
	v_mfma_f32_16x16x32_fp8_fp8 v[168:171], a[16:17], v[132:133], v[168:171]// 0000000059CC: D3F300A8 0EA30910
	v_mfma_f32_16x16x32_fp8_fp8 v[168:171], a[18:19], v[134:135], v[168:171]// 0000000059D4: D3F300A8 0EA30D12
	buffer_load_dwordx4 a[96:99], v39, s[12:15], 0 offen       // 0000000059DC: E05C1000 80836027
	v_mfma_f32_16x16x32_fp8_fp8 v[172:175], a[16:17], v[152:153], v[172:175]// 0000000059E4: D3F300AC 0EB33110
	v_mfma_f32_16x16x32_fp8_fp8 v[172:175], a[18:19], v[154:155], v[172:175]// 0000000059EC: D3F300AC 0EB33512
	v_mfma_f32_16x16x32_fp8_fp8 v[176:179], a[20:21], v[132:133], v[176:179]// 0000000059F4: D3F300B0 0EC30914
	v_mfma_f32_16x16x32_fp8_fp8 v[176:179], a[22:23], v[134:135], v[176:179]// 0000000059FC: D3F300B0 0EC30D16
	buffer_load_dwordx4 a[100:103], v40, s[12:15], 0 offen     // 000000005A04: E05C1000 80836428
	v_mfma_f32_16x16x32_fp8_fp8 v[180:183], a[20:21], v[152:153], v[180:183]// 000000005A0C: D3F300B4 0ED33114
	v_mfma_f32_16x16x32_fp8_fp8 v[180:183], a[22:23], v[154:155], v[180:183]// 000000005A14: D3F300B4 0ED33516
	v_mfma_f32_16x16x32_fp8_fp8 v[184:187], a[24:25], v[132:133], v[184:187]// 000000005A1C: D3F300B8 0EE30918
	v_mfma_f32_16x16x32_fp8_fp8 v[184:187], a[26:27], v[134:135], v[184:187]// 000000005A24: D3F300B8 0EE30D1A
	buffer_load_dwordx4 a[104:107], v41, s[12:15], 0 offen     // 000000005A2C: E05C1000 80836829
	v_mfma_f32_16x16x32_fp8_fp8 v[188:191], a[24:25], v[152:153], v[188:191]// 000000005A34: D3F300BC 0EF33118
	v_mfma_f32_16x16x32_fp8_fp8 v[188:191], a[26:27], v[154:155], v[188:191]// 000000005A3C: D3F300BC 0EF3351A
	v_mfma_f32_16x16x32_fp8_fp8 v[192:195], a[28:29], v[132:133], v[192:195]// 000000005A44: D3F300C0 0F03091C
	v_mfma_f32_16x16x32_fp8_fp8 v[192:195], a[30:31], v[134:135], v[192:195]// 000000005A4C: D3F300C0 0F030D1E
	buffer_load_dwordx4 a[108:111], v42, s[12:15], 0 offen     // 000000005A54: E05C1000 80836C2A
	s_add_u32 s12, s78, s12                                    // 000000005A5C: 800C0C4E
	s_addc_u32 s13, 0, s13                                     // 000000005A60: 820D0D80
	v_mfma_f32_16x16x32_fp8_fp8 v[196:199], a[28:29], v[152:153], v[196:199]// 000000005A64: D3F300C4 0F13311C
	v_mfma_f32_16x16x32_fp8_fp8 v[196:199], a[30:31], v[154:155], v[196:199]// 000000005A6C: D3F300C4 0F13351E
	s_waitcnt vmcnt(17)                                        // 000000005A74: BF8C4F71
	v_mfma_f32_16x16x32_fp8_fp8 v[168:171], a[32:33], v[136:137], v[168:171]// 000000005A78: D3F300A8 0EA31120
	ds_write_b64 v3, v[200:201] offset:36096                   // 000000005A80: D89A8D00 0000C803
	v_mfma_f32_16x16x32_fp8_fp8 v[168:171], a[34:35], v[138:139], v[168:171]// 000000005A88: D3F300A8 0EA31522
	buffer_load_dwordx4 a[112:115], v39, s[12:15], 0 offen     // 000000005A90: E05C1000 80837027
	v_mfma_f32_16x16x32_fp8_fp8 v[172:175], a[32:33], v[156:157], v[172:175]// 000000005A98: D3F300AC 0EB33920
	ds_write_b64 v3, v[202:203] offset:44800                   // 000000005AA0: D89AAF00 0000CA03
	v_mfma_f32_16x16x32_fp8_fp8 v[172:175], a[34:35], v[158:159], v[172:175]// 000000005AA8: D3F300AC 0EB33D22
	v_mfma_f32_16x16x32_fp8_fp8 v[176:179], a[36:37], v[136:137], v[176:179]// 000000005AB0: D3F300B0 0EC31124
	ds_write_b64 v3, v[204:205] offset:38272                   // 000000005AB8: D89A9580 0000CC03
	v_mfma_f32_16x16x32_fp8_fp8 v[176:179], a[38:39], v[138:139], v[176:179]// 000000005AC0: D3F300B0 0EC31526
	buffer_load_dwordx4 a[116:119], v40, s[12:15], 0 offen     // 000000005AC8: E05C1000 80837428
	v_mfma_f32_16x16x32_fp8_fp8 v[180:183], a[36:37], v[156:157], v[180:183]// 000000005AD0: D3F300B4 0ED33924
	ds_write_b64 v3, v[206:207] offset:46976                   // 000000005AD8: D89AB780 0000CE03
	v_mfma_f32_16x16x32_fp8_fp8 v[180:183], a[38:39], v[158:159], v[180:183]// 000000005AE0: D3F300B4 0ED33D26
	v_mfma_f32_16x16x32_fp8_fp8 v[184:187], a[40:41], v[136:137], v[184:187]// 000000005AE8: D3F300B8 0EE31128
	ds_write_b64 v3, v[208:209] offset:40448                   // 000000005AF0: D89A9E00 0000D003
	v_mfma_f32_16x16x32_fp8_fp8 v[184:187], a[42:43], v[138:139], v[184:187]// 000000005AF8: D3F300B8 0EE3152A
	buffer_load_dwordx4 a[120:123], v41, s[12:15], 0 offen     // 000000005B00: E05C1000 80837829
	v_mfma_f32_16x16x32_fp8_fp8 v[188:191], a[40:41], v[156:157], v[188:191]// 000000005B08: D3F300BC 0EF33928
	ds_write_b64 v3, v[210:211] offset:49152                   // 000000005B10: D89AC000 0000D203
	v_mfma_f32_16x16x32_fp8_fp8 v[188:191], a[42:43], v[158:159], v[188:191]// 000000005B18: D3F300BC 0EF33D2A
	v_mfma_f32_16x16x32_fp8_fp8 v[192:195], a[44:45], v[136:137], v[192:195]// 000000005B20: D3F300C0 0F03112C
	ds_write_b64 v3, v[212:213] offset:42624                   // 000000005B28: D89AA680 0000D403
	v_mfma_f32_16x16x32_fp8_fp8 v[192:195], a[46:47], v[138:139], v[192:195]// 000000005B30: D3F300C0 0F03152E
	buffer_load_dwordx4 a[124:127], v42, s[12:15], 0 offen     // 000000005B38: E05C1000 80837C2A
	s_add_u32 s12, s78, s12                                    // 000000005B40: 800C0C4E
	s_addc_u32 s13, 0, s13                                     // 000000005B44: 820D0D80
	v_mfma_f32_16x16x32_fp8_fp8 v[196:199], a[44:45], v[156:157], v[196:199]// 000000005B48: D3F300C4 0F13392C
	ds_write_b64 v3, v[214:215] offset:51328                   // 000000005B50: D89AC880 0000D603
	v_mfma_f32_16x16x32_fp8_fp8 v[196:199], a[46:47], v[158:159], v[196:199]// 000000005B58: D3F300C4 0F133D2E
	s_waitcnt vmcnt(17)                                        // 000000005B60: BF8C4F71
	v_mfma_f32_16x16x32_fp8_fp8 v[168:171], a[48:49], v[140:141], v[168:171]// 000000005B64: D3F300A8 0EA31930
	v_mfma_f32_16x16x32_fp8_fp8 v[168:171], a[50:51], v[142:143], v[168:171]// 000000005B6C: D3F300A8 0EA31D32
	buffer_load_dwordx4 a[128:131], v39, s[12:15], 0 offen     // 000000005B74: E05C1000 80838027
	v_mfma_f32_16x16x32_fp8_fp8 v[172:175], a[48:49], v[160:161], v[172:175]// 000000005B7C: D3F300AC 0EB34130
	v_mfma_f32_16x16x32_fp8_fp8 v[172:175], a[50:51], v[162:163], v[172:175]// 000000005B84: D3F300AC 0EB34532
	v_mfma_f32_16x16x32_fp8_fp8 v[176:179], a[52:53], v[140:141], v[176:179]// 000000005B8C: D3F300B0 0EC31934
	v_mfma_f32_16x16x32_fp8_fp8 v[176:179], a[54:55], v[142:143], v[176:179]// 000000005B94: D3F300B0 0EC31D36
	buffer_load_dwordx4 a[132:135], v40, s[12:15], 0 offen     // 000000005B9C: E05C1000 80838428
	v_mfma_f32_16x16x32_fp8_fp8 v[180:183], a[52:53], v[160:161], v[180:183]// 000000005BA4: D3F300B4 0ED34134
	v_mfma_f32_16x16x32_fp8_fp8 v[180:183], a[54:55], v[162:163], v[180:183]// 000000005BAC: D3F300B4 0ED34536
	v_mfma_f32_16x16x32_fp8_fp8 v[184:187], a[56:57], v[140:141], v[184:187]// 000000005BB4: D3F300B8 0EE31938
	v_mfma_f32_16x16x32_fp8_fp8 v[184:187], a[58:59], v[142:143], v[184:187]// 000000005BBC: D3F300B8 0EE31D3A
	buffer_load_dwordx4 a[136:139], v41, s[12:15], 0 offen     // 000000005BC4: E05C1000 80838829
	v_mfma_f32_16x16x32_fp8_fp8 v[188:191], a[56:57], v[160:161], v[188:191]// 000000005BCC: D3F300BC 0EF34138
	v_mfma_f32_16x16x32_fp8_fp8 v[188:191], a[58:59], v[162:163], v[188:191]// 000000005BD4: D3F300BC 0EF3453A
	v_mfma_f32_16x16x32_fp8_fp8 v[192:195], a[60:61], v[140:141], v[192:195]// 000000005BDC: D3F300C0 0F03193C
	v_mfma_f32_16x16x32_fp8_fp8 v[192:195], a[62:63], v[142:143], v[192:195]// 000000005BE4: D3F300C0 0F031D3E
	buffer_load_dwordx4 a[140:143], v42, s[12:15], 0 offen     // 000000005BEC: E05C1000 80838C2A
	s_add_u32 s12, s78, s12                                    // 000000005BF4: 800C0C4E
	s_addc_u32 s13, 0, s13                                     // 000000005BF8: 820D0D80
	v_mfma_f32_16x16x32_fp8_fp8 v[196:199], a[60:61], v[160:161], v[196:199]// 000000005BFC: D3F300C4 0F13413C
	v_mfma_f32_16x16x32_fp8_fp8 v[196:199], a[62:63], v[162:163], v[196:199]// 000000005C04: D3F300C4 0F13453E
	s_waitcnt vmcnt(16)                                        // 000000005C0C: BF8C4F70
	v_mfma_f32_16x16x32_fp8_fp8 v[168:171], a[64:65], v[144:145], v[168:171]// 000000005C10: D3F300A8 0EA32140
	v_mfma_f32_16x16x32_fp8_fp8 v[168:171], a[66:67], v[146:147], v[168:171]// 000000005C18: D3F300A8 0EA32542
	buffer_load_dwordx4 a[144:147], v39, s[12:15], 0 offen     // 000000005C20: E05C1000 80839027
	v_mfma_f32_16x16x32_fp8_fp8 v[172:175], a[64:65], v[164:165], v[172:175]// 000000005C28: D3F300AC 0EB34940
	v_mfma_f32_16x16x32_fp8_fp8 v[172:175], a[66:67], v[166:167], v[172:175]// 000000005C30: D3F300AC 0EB34D42
	buffer_load_dword v13, v5, s[16:19], 0 offen               // 000000005C38: E0501000 80040D05
	v_mfma_f32_16x16x32_fp8_fp8 v[176:179], a[68:69], v[144:145], v[176:179]// 000000005C40: D3F300B0 0EC32144
	v_mfma_f32_16x16x32_fp8_fp8 v[176:179], a[70:71], v[146:147], v[176:179]// 000000005C48: D3F300B0 0EC32546
	buffer_load_dwordx4 a[148:151], v40, s[12:15], 0 offen     // 000000005C50: E05C1000 80839428
	v_mfma_f32_16x16x32_fp8_fp8 v[180:183], a[68:69], v[164:165], v[180:183]// 000000005C58: D3F300B4 0ED34944
	v_mfma_f32_16x16x32_fp8_fp8 v[180:183], a[70:71], v[166:167], v[180:183]// 000000005C60: D3F300B4 0ED34D46
	v_mfma_f32_16x16x32_fp8_fp8 v[184:187], a[72:73], v[144:145], v[184:187]// 000000005C68: D3F300B8 0EE32148
	v_mfma_f32_16x16x32_fp8_fp8 v[184:187], a[74:75], v[146:147], v[184:187]// 000000005C70: D3F300B8 0EE3254A
	buffer_load_dwordx4 a[152:155], v41, s[12:15], 0 offen     // 000000005C78: E05C1000 80839829
	v_mfma_f32_16x16x32_fp8_fp8 v[188:191], a[72:73], v[164:165], v[188:191]// 000000005C80: D3F300BC 0EF34948
	v_mfma_f32_16x16x32_fp8_fp8 v[188:191], a[74:75], v[166:167], v[188:191]// 000000005C88: D3F300BC 0EF34D4A
	v_mfma_f32_16x16x32_fp8_fp8 v[192:195], a[76:77], v[144:145], v[192:195]// 000000005C90: D3F300C0 0F03214C
	v_mfma_f32_16x16x32_fp8_fp8 v[192:195], a[78:79], v[146:147], v[192:195]// 000000005C98: D3F300C0 0F03254E
	buffer_load_dwordx4 a[156:159], v42, s[12:15], 0 offen     // 000000005CA0: E05C1000 80839C2A
	v_mfma_f32_16x16x32_fp8_fp8 v[196:199], a[76:77], v[164:165], v[196:199]// 000000005CA8: D3F300C4 0F13494C
	v_mfma_f32_16x16x32_fp8_fp8 v[196:199], a[78:79], v[166:167], v[196:199]// 000000005CB0: D3F300C4 0F134D4E
	s_add_u32 s60, 0x200, s80                                  // 000000005CB8: 803C50FF 00000200
	s_cmp_lt_u32 s60, s81                                      // 000000005CC0: BF0A513C
	s_cselect_b32 s56, s56, 0                                  // 000000005CC4: 85388038
	s_cselect_b32 s78, s78, 0                                  // 000000005CC8: 854E804E
	s_cselect_b32 s79, s79, 0                                  // 000000005CCC: 854F804F
	s_add_u32 s12, s56, s12                                    // 000000005CD0: 800C0C38
	s_addc_u32 s13, 0, s13                                     // 000000005CD4: 820D0D80
	s_add_u32 s16, s79, s16                                    // 000000005CD8: 8010104F
	s_addc_u32 s17, 0, s17                                     // 000000005CDC: 82111180
	v_mul_f32_e32 v168, v24, v168                              // 000000005CE0: 0B515118
	v_mul_f32_e32 v169, v24, v169                              // 000000005CE4: 0B535318
	v_mul_f32_e32 v170, v24, v170                              // 000000005CE8: 0B555518
	v_mul_f32_e32 v171, v24, v171                              // 000000005CEC: 0B575718
	v_mul_f32_dpp v168, v12, v168 row_newbcast:0 row_mask:0xf bank_mask:0xf// 000000005CF0: 0B5150FA FF01500C
	v_mul_f32_dpp v169, v12, v169 row_newbcast:1 row_mask:0xf bank_mask:0xf// 000000005CF8: 0B5352FA FF01510C
	v_mul_f32_dpp v170, v12, v170 row_newbcast:2 row_mask:0xf bank_mask:0xf// 000000005D00: 0B5554FA FF01520C
	v_mul_f32_dpp v171, v12, v171 row_newbcast:3 row_mask:0xf bank_mask:0xf// 000000005D08: 0B5756FA FF01530C
	v_mul_f32_e32 v168, v20, v168                              // 000000005D10: 0B515114
	v_mul_f32_e32 v169, v20, v169                              // 000000005D14: 0B535314
	v_mul_f32_e32 v170, v20, v170                              // 000000005D18: 0B555514
	v_mul_f32_e32 v171, v20, v171                              // 000000005D1C: 0B575714
	v_mul_f32_e32 v172, v25, v172                              // 000000005D20: 0B595919
	v_mul_f32_e32 v173, v25, v173                              // 000000005D24: 0B5B5B19
	v_mul_f32_e32 v174, v25, v174                              // 000000005D28: 0B5D5D19
	v_mul_f32_e32 v175, v25, v175                              // 000000005D2C: 0B5F5F19
	v_mul_f32_dpp v172, v12, v172 row_newbcast:0 row_mask:0xf bank_mask:0xf// 000000005D30: 0B5958FA FF01500C
	v_mul_f32_dpp v173, v12, v173 row_newbcast:1 row_mask:0xf bank_mask:0xf// 000000005D38: 0B5B5AFA FF01510C
	v_mul_f32_dpp v174, v12, v174 row_newbcast:2 row_mask:0xf bank_mask:0xf// 000000005D40: 0B5D5CFA FF01520C
	v_mul_f32_dpp v175, v12, v175 row_newbcast:3 row_mask:0xf bank_mask:0xf// 000000005D48: 0B5F5EFA FF01530C
	v_mul_f32_e32 v172, v21, v172                              // 000000005D50: 0B595915
	v_mul_f32_e32 v173, v21, v173                              // 000000005D54: 0B5B5B15
	v_mul_f32_e32 v174, v21, v174                              // 000000005D58: 0B5D5D15
	v_mul_f32_e32 v175, v21, v175                              // 000000005D5C: 0B5F5F15
	v_mul_f32_e32 v176, v24, v176                              // 000000005D60: 0B616118
	v_mul_f32_e32 v177, v24, v177                              // 000000005D64: 0B636318
	v_mul_f32_e32 v178, v24, v178                              // 000000005D68: 0B656518
	v_mul_f32_e32 v179, v24, v179                              // 000000005D6C: 0B676718
	v_mul_f32_dpp v176, v12, v176 row_newbcast:4 row_mask:0xf bank_mask:0xf// 000000005D70: 0B6160FA FF01540C
	v_mul_f32_dpp v177, v12, v177 row_newbcast:5 row_mask:0xf bank_mask:0xf// 000000005D78: 0B6362FA FF01550C
	v_mul_f32_dpp v178, v12, v178 row_newbcast:6 row_mask:0xf bank_mask:0xf// 000000005D80: 0B6564FA FF01560C
	v_mul_f32_dpp v179, v12, v179 row_newbcast:7 row_mask:0xf bank_mask:0xf// 000000005D88: 0B6766FA FF01570C
	v_mul_f32_e32 v176, v20, v176                              // 000000005D90: 0B616114
	v_mul_f32_e32 v177, v20, v177                              // 000000005D94: 0B636314
	v_mul_f32_e32 v178, v20, v178                              // 000000005D98: 0B656514
	v_mul_f32_e32 v179, v20, v179                              // 000000005D9C: 0B676714
	v_mul_f32_e32 v180, v25, v180                              // 000000005DA0: 0B696919
	v_mul_f32_e32 v181, v25, v181                              // 000000005DA4: 0B6B6B19
	v_mul_f32_e32 v182, v25, v182                              // 000000005DA8: 0B6D6D19
	v_mul_f32_e32 v183, v25, v183                              // 000000005DAC: 0B6F6F19
	v_mul_f32_dpp v180, v12, v180 row_newbcast:4 row_mask:0xf bank_mask:0xf// 000000005DB0: 0B6968FA FF01540C
	v_mul_f32_dpp v181, v12, v181 row_newbcast:5 row_mask:0xf bank_mask:0xf// 000000005DB8: 0B6B6AFA FF01550C
	v_mul_f32_dpp v182, v12, v182 row_newbcast:6 row_mask:0xf bank_mask:0xf// 000000005DC0: 0B6D6CFA FF01560C
	v_mul_f32_dpp v183, v12, v183 row_newbcast:7 row_mask:0xf bank_mask:0xf// 000000005DC8: 0B6F6EFA FF01570C
	v_mul_f32_e32 v180, v21, v180                              // 000000005DD0: 0B696915
	v_mul_f32_e32 v181, v21, v181                              // 000000005DD4: 0B6B6B15
	v_mul_f32_e32 v182, v21, v182                              // 000000005DD8: 0B6D6D15
	v_mul_f32_e32 v183, v21, v183                              // 000000005DDC: 0B6F6F15
	v_mul_f32_e32 v184, v24, v184                              // 000000005DE0: 0B717118
	v_mul_f32_e32 v185, v24, v185                              // 000000005DE4: 0B737318
	v_mul_f32_e32 v186, v24, v186                              // 000000005DE8: 0B757518
	v_mul_f32_e32 v187, v24, v187                              // 000000005DEC: 0B777718
	v_mul_f32_dpp v184, v12, v184 row_newbcast:8 row_mask:0xf bank_mask:0xf// 000000005DF0: 0B7170FA FF01580C
	v_mul_f32_dpp v185, v12, v185 row_newbcast:9 row_mask:0xf bank_mask:0xf// 000000005DF8: 0B7372FA FF01590C
	v_mul_f32_dpp v186, v12, v186 row_newbcast:10 row_mask:0xf bank_mask:0xf// 000000005E00: 0B7574FA FF015A0C
	v_mul_f32_dpp v187, v12, v187 row_newbcast:11 row_mask:0xf bank_mask:0xf// 000000005E08: 0B7776FA FF015B0C
	v_mul_f32_e32 v184, v20, v184                              // 000000005E10: 0B717114
	v_mul_f32_e32 v185, v20, v185                              // 000000005E14: 0B737314
	v_mul_f32_e32 v186, v20, v186                              // 000000005E18: 0B757514
	v_mul_f32_e32 v187, v20, v187                              // 000000005E1C: 0B777714
	v_mul_f32_e32 v188, v25, v188                              // 000000005E20: 0B797919
	v_mul_f32_e32 v189, v25, v189                              // 000000005E24: 0B7B7B19
	v_mul_f32_e32 v190, v25, v190                              // 000000005E28: 0B7D7D19
	v_mul_f32_e32 v191, v25, v191                              // 000000005E2C: 0B7F7F19
	v_mul_f32_dpp v188, v12, v188 row_newbcast:8 row_mask:0xf bank_mask:0xf// 000000005E30: 0B7978FA FF01580C
	v_mul_f32_dpp v189, v12, v189 row_newbcast:9 row_mask:0xf bank_mask:0xf// 000000005E38: 0B7B7AFA FF01590C
	v_mul_f32_dpp v190, v12, v190 row_newbcast:10 row_mask:0xf bank_mask:0xf// 000000005E40: 0B7D7CFA FF015A0C
	v_mul_f32_dpp v191, v12, v191 row_newbcast:11 row_mask:0xf bank_mask:0xf// 000000005E48: 0B7F7EFA FF015B0C
	v_mul_f32_e32 v188, v21, v188                              // 000000005E50: 0B797915
	v_mul_f32_e32 v189, v21, v189                              // 000000005E54: 0B7B7B15
	v_mul_f32_e32 v190, v21, v190                              // 000000005E58: 0B7D7D15
	v_mul_f32_e32 v191, v21, v191                              // 000000005E5C: 0B7F7F15
	v_mul_f32_e32 v192, v24, v192                              // 000000005E60: 0B818118
	v_mul_f32_e32 v193, v24, v193                              // 000000005E64: 0B838318
	v_mul_f32_e32 v194, v24, v194                              // 000000005E68: 0B858518
	v_mul_f32_e32 v195, v24, v195                              // 000000005E6C: 0B878718
	v_mul_f32_dpp v192, v12, v192 row_newbcast:12 row_mask:0xf bank_mask:0xf// 000000005E70: 0B8180FA FF015C0C
	v_mul_f32_dpp v193, v12, v193 row_newbcast:13 row_mask:0xf bank_mask:0xf// 000000005E78: 0B8382FA FF015D0C
	v_mul_f32_dpp v194, v12, v194 row_newbcast:14 row_mask:0xf bank_mask:0xf// 000000005E80: 0B8584FA FF015E0C
	v_mul_f32_dpp v195, v12, v195 row_newbcast:15 row_mask:0xf bank_mask:0xf// 000000005E88: 0B8786FA FF015F0C
	v_mul_f32_e32 v192, v20, v192                              // 000000005E90: 0B818114
	v_mul_f32_e32 v193, v20, v193                              // 000000005E94: 0B838314
	v_mul_f32_e32 v194, v20, v194                              // 000000005E98: 0B858514
	v_mul_f32_e32 v195, v20, v195                              // 000000005E9C: 0B878714
	v_mul_f32_e32 v196, v25, v196                              // 000000005EA0: 0B898919
	v_mul_f32_e32 v197, v25, v197                              // 000000005EA4: 0B8B8B19
	v_mul_f32_e32 v198, v25, v198                              // 000000005EA8: 0B8D8D19
	v_mul_f32_e32 v199, v25, v199                              // 000000005EAC: 0B8F8F19
	v_mul_f32_dpp v196, v12, v196 row_newbcast:12 row_mask:0xf bank_mask:0xf// 000000005EB0: 0B8988FA FF015C0C
	v_mul_f32_dpp v197, v12, v197 row_newbcast:13 row_mask:0xf bank_mask:0xf// 000000005EB8: 0B8B8AFA FF015D0C
	v_mul_f32_dpp v198, v12, v198 row_newbcast:14 row_mask:0xf bank_mask:0xf// 000000005EC0: 0B8D8CFA FF015E0C
	v_mul_f32_dpp v199, v12, v199 row_newbcast:15 row_mask:0xf bank_mask:0xf// 000000005EC8: 0B8F8EFA FF015F0C
	v_mul_f32_e32 v196, v21, v196                              // 000000005ED0: 0B898915
	v_mul_f32_e32 v197, v21, v197                              // 000000005ED4: 0B8B8B15
	v_mul_f32_e32 v198, v21, v198                              // 000000005ED8: 0B8D8D15
	v_mul_f32_e32 v199, v21, v199                              // 000000005EDC: 0B8F8F15
	v_cvt_pkrtz_f16_f32 v168, v168, v169                       // 000000005EE0: D29600A8 000353A8
	v_cvt_pkrtz_f16_f32 v169, v170, v171                       // 000000005EE8: D29600A9 000357AA
	v_cvt_pkrtz_f16_f32 v170, v172, v173                       // 000000005EF0: D29600AA 00035BAC
	v_cvt_pkrtz_f16_f32 v171, v174, v175                       // 000000005EF8: D29600AB 00035FAE
	v_cvt_pkrtz_f16_f32 v172, v176, v177                       // 000000005F00: D29600AC 000363B0
	v_cvt_pkrtz_f16_f32 v173, v178, v179                       // 000000005F08: D29600AD 000367B2
	v_cvt_pkrtz_f16_f32 v174, v180, v181                       // 000000005F10: D29600AE 00036BB4
	v_cvt_pkrtz_f16_f32 v175, v182, v183                       // 000000005F18: D29600AF 00036FB6
	v_cvt_pkrtz_f16_f32 v176, v184, v185                       // 000000005F20: D29600B0 000373B8
	v_cvt_pkrtz_f16_f32 v177, v186, v187                       // 000000005F28: D29600B1 000377BA
	v_cvt_pkrtz_f16_f32 v178, v188, v189                       // 000000005F30: D29600B2 00037BBC
	v_cvt_pkrtz_f16_f32 v179, v190, v191                       // 000000005F38: D29600B3 00037FBE
	v_cvt_pkrtz_f16_f32 v180, v192, v193                       // 000000005F40: D29600B4 000383C0
	v_cvt_pkrtz_f16_f32 v181, v194, v195                       // 000000005F48: D29600B5 000387C2
	v_cvt_pkrtz_f16_f32 v182, v196, v197                       // 000000005F50: D29600B6 00038BC4
	v_cvt_pkrtz_f16_f32 v183, v198, v199                       // 000000005F58: D29600B7 00038FC6
	s_cmp_ge_u32 s80, 0x200                                    // 000000005F60: BF09FF50 00000200
	s_cselect_b32 s59, 0x200, s59                              // 000000005F68: 853B3BFF 00000200
	s_setvskip s20, 0                                          // 000000005F70: BF108014
	global_atomic_pk_add_f16 v80, v64, s[8:9]                  // 000000005F74: DD388000 00084050
	s_setvskip 0, 0                                            // 000000005F7C: BF108080
	s_setvskip s20, 0                                          // 000000005F80: BF108014
	global_atomic_pk_add_f16 v80, v65, s[8:9] offset:256       // 000000005F84: DD388100 00084150
	s_setvskip 0, 0                                            // 000000005F8C: BF108080
	s_setvskip s20, 1                                          // 000000005F90: BF108114
	global_atomic_pk_add_f16 v82, v66, s[8:9]                  // 000000005F94: DD388000 00084252
	s_setvskip 0, 0                                            // 000000005F9C: BF108080
	s_setvskip s20, 1                                          // 000000005FA0: BF108114
	global_atomic_pk_add_f16 v82, v67, s[8:9] offset:256       // 000000005FA4: DD388100 00084352
	s_setvskip 0, 0                                            // 000000005FAC: BF108080
	s_setvskip s20, 2                                          // 000000005FB0: BF108214
	global_atomic_pk_add_f16 v84, v68, s[8:9]                  // 000000005FB4: DD388000 00084454
	s_setvskip 0, 0                                            // 000000005FBC: BF108080
	s_setvskip s20, 2                                          // 000000005FC0: BF108214
	global_atomic_pk_add_f16 v84, v69, s[8:9] offset:256       // 000000005FC4: DD388100 00084554
	s_setvskip 0, 0                                            // 000000005FCC: BF108080
	s_setvskip s20, 3                                          // 000000005FD0: BF108314
	global_atomic_pk_add_f16 v86, v70, s[8:9]                  // 000000005FD4: DD388000 00084656
	s_setvskip 0, 0                                            // 000000005FDC: BF108080
	s_setvskip s20, 3                                          // 000000005FE0: BF108314
	global_atomic_pk_add_f16 v86, v71, s[8:9] offset:256       // 000000005FE4: DD388100 00084756
	s_setvskip 0, 0                                            // 000000005FEC: BF108080
	s_setvskip s20, 4                                          // 000000005FF0: BF108414
	global_atomic_pk_add_f16 v88, v72, s[8:9]                  // 000000005FF4: DD388000 00084858
	s_setvskip 0, 0                                            // 000000005FFC: BF108080
	s_setvskip s20, 4                                          // 000000006000: BF108414
	global_atomic_pk_add_f16 v88, v73, s[8:9] offset:256       // 000000006004: DD388100 00084958
	s_setvskip 0, 0                                            // 00000000600C: BF108080
	s_setvskip s20, 5                                          // 000000006010: BF108514
	global_atomic_pk_add_f16 v90, v74, s[8:9]                  // 000000006014: DD388000 00084A5A
	s_setvskip 0, 0                                            // 00000000601C: BF108080
	s_setvskip s20, 5                                          // 000000006020: BF108514
	global_atomic_pk_add_f16 v90, v75, s[8:9] offset:256       // 000000006024: DD388100 00084B5A
	s_setvskip 0, 0                                            // 00000000602C: BF108080
	s_setvskip s20, 6                                          // 000000006030: BF108614
	global_atomic_pk_add_f16 v92, v76, s[8:9]                  // 000000006034: DD388000 00084C5C
	s_setvskip 0, 0                                            // 00000000603C: BF108080
	s_setvskip s20, 6                                          // 000000006040: BF108614
	global_atomic_pk_add_f16 v92, v77, s[8:9] offset:256       // 000000006044: DD388100 00084D5C
	s_setvskip 0, 0                                            // 00000000604C: BF108080
	s_setvskip s20, 7                                          // 000000006050: BF108714
	global_atomic_pk_add_f16 v94, v78, s[8:9]                  // 000000006054: DD388000 00084E5E
	s_setvskip 0, 0                                            // 00000000605C: BF108080
	s_setvskip s20, 7                                          // 000000006060: BF108714
	global_atomic_pk_add_f16 v94, v79, s[8:9] offset:256       // 000000006064: DD388100 00084F5E
	s_setvskip 0, 0                                            // 00000000606C: BF108080
	s_add_u32 s8, s59, s8                                      // 000000006070: 8008083B
	s_addc_u32 s9, 0, s9                                       // 000000006074: 82090980
	s_addk_i32 s80, 0x100                                      // 000000006078: B7500100
	s_cmp_lt_i32 s80, s81                                      // 00000000607C: BF045150
	s_cbranch_scc0 label_0E9D                                  // 000000006080: BF8401FC
	s_waitcnt vmcnt(17) lgkmcnt(0)                             // 000000006084: BF8C4071
	s_barrier                                                  // 000000006088: BF8A0000
	v_mfma_f32_16x16x32_fp8_fp8 v[200:203], a[80:81], v[128:129], 0// 00000000608C: D3F300C8 0A030150
	ds_read_b32 v64, v4 offset:36096                           // 000000006094: D86C8D00 40000004
	ds_read_b32 v65, v4 offset:40448                           // 00000000609C: D86C9E00 41000004
	v_mfma_f32_16x16x32_fp8_fp8 v[200:203], a[82:83], v[130:131], v[200:203]// 0000000060A4: D3F300C8 0F230552
	buffer_load_dwordx4 a[0:3], v39, s[12:15], 0 offen         // 0000000060AC: E05C1000 80830027
	v_mfma_f32_16x16x32_fp8_fp8 v[204:207], a[80:81], v[148:149], 0// 0000000060B4: D3F300CC 0A032950
	ds_read_b32 v66, v4 offset:36128                           // 0000000060BC: D86C8D20 42000004
	ds_read_b32 v67, v4 offset:40480                           // 0000000060C4: D86C9E20 43000004
	v_mfma_f32_16x16x32_fp8_fp8 v[204:207], a[82:83], v[150:151], v[204:207]// 0000000060CC: D3F300CC 0F332D52
	v_mfma_f32_16x16x32_fp8_fp8 v[208:211], a[84:85], v[128:129], 0// 0000000060D4: D3F300D0 0A030154
	ds_read_b32 v68, v4 offset:36160                           // 0000000060DC: D86C8D40 44000004
	ds_read_b32 v69, v4 offset:40512                           // 0000000060E4: D86C9E40 45000004
	v_mfma_f32_16x16x32_fp8_fp8 v[208:211], a[86:87], v[130:131], v[208:211]// 0000000060EC: D3F300D0 0F430556
	buffer_load_dwordx4 a[4:7], v40, s[12:15], 0 offen         // 0000000060F4: E05C1000 80830428
	v_mfma_f32_16x16x32_fp8_fp8 v[212:215], a[84:85], v[148:149], 0// 0000000060FC: D3F300D4 0A032954
	ds_read_b32 v70, v4 offset:36192                           // 000000006104: D86C8D60 46000004
	ds_read_b32 v71, v4 offset:40544                           // 00000000610C: D86C9E60 47000004
	v_mfma_f32_16x16x32_fp8_fp8 v[212:215], a[86:87], v[150:151], v[212:215]// 000000006114: D3F300D4 0F532D56
	v_mfma_f32_16x16x32_fp8_fp8 v[216:219], a[88:89], v[128:129], 0// 00000000611C: D3F300D8 0A030158
	ds_read_b32 v72, v4 offset:44800                           // 000000006124: D86CAF00 48000004
	ds_read_b32 v73, v4 offset:49152                           // 00000000612C: D86CC000 49000004
	v_mfma_f32_16x16x32_fp8_fp8 v[216:219], a[90:91], v[130:131], v[216:219]// 000000006134: D3F300D8 0F63055A
	buffer_load_dwordx4 a[8:11], v41, s[12:15], 0 offen        // 00000000613C: E05C1000 80830829
	v_mfma_f32_16x16x32_fp8_fp8 v[220:223], a[88:89], v[148:149], 0// 000000006144: D3F300DC 0A032958
	ds_read_b32 v74, v4 offset:44832                           // 00000000614C: D86CAF20 4A000004
	ds_read_b32 v75, v4 offset:49184                           // 000000006154: D86CC020 4B000004
	v_mfma_f32_16x16x32_fp8_fp8 v[220:223], a[90:91], v[150:151], v[220:223]// 00000000615C: D3F300DC 0F732D5A
	v_mfma_f32_16x16x32_fp8_fp8 v[224:227], a[92:93], v[128:129], 0// 000000006164: D3F300E0 0A03015C
	ds_read_b32 v76, v4 offset:44864                           // 00000000616C: D86CAF40 4C000004
	ds_read_b32 v77, v4 offset:49216                           // 000000006174: D86CC040 4D000004
	v_mfma_f32_16x16x32_fp8_fp8 v[224:227], a[94:95], v[130:131], v[224:227]// 00000000617C: D3F300E0 0F83055E
	buffer_load_dwordx4 a[12:15], v42, s[12:15], 0 offen       // 000000006184: E05C1000 80830C2A
	s_add_u32 s12, s78, s12                                    // 00000000618C: 800C0C4E
	s_addc_u32 s13, 0, s13                                     // 000000006190: 820D0D80
	v_mfma_f32_16x16x32_fp8_fp8 v[228:231], a[92:93], v[148:149], 0// 000000006194: D3F300E4 0A03295C
	ds_read_b32 v78, v4 offset:44896                           // 00000000619C: D86CAF60 4E000004
	ds_read_b32 v79, v4 offset:49248                           // 0000000061A4: D86CC060 4F000004
	v_mfma_f32_16x16x32_fp8_fp8 v[228:231], a[94:95], v[150:151], v[228:231]// 0000000061AC: D3F300E4 0F932D5E
	s_waitcnt vmcnt(17)                                        // 0000000061B4: BF8C4F71
	v_mfma_f32_16x16x32_fp8_fp8 v[200:203], a[96:97], v[132:133], v[200:203]// 0000000061B8: D3F300C8 0F230960
	v_mfma_f32_16x16x32_fp8_fp8 v[200:203], a[98:99], v[134:135], v[200:203]// 0000000061C0: D3F300C8 0F230D62
	buffer_load_dwordx4 a[16:19], v39, s[12:15], 0 offen       // 0000000061C8: E05C1000 80831027
	v_mfma_f32_16x16x32_fp8_fp8 v[204:207], a[96:97], v[152:153], v[204:207]// 0000000061D0: D3F300CC 0F333160
	v_mfma_f32_16x16x32_fp8_fp8 v[204:207], a[98:99], v[154:155], v[204:207]// 0000000061D8: D3F300CC 0F333562
	v_mfma_f32_16x16x32_fp8_fp8 v[208:211], a[100:101], v[132:133], v[208:211]// 0000000061E0: D3F300D0 0F430964
	v_mfma_f32_16x16x32_fp8_fp8 v[208:211], a[102:103], v[134:135], v[208:211]// 0000000061E8: D3F300D0 0F430D66
	buffer_load_dwordx4 a[20:23], v40, s[12:15], 0 offen       // 0000000061F0: E05C1000 80831428
	v_mfma_f32_16x16x32_fp8_fp8 v[212:215], a[100:101], v[152:153], v[212:215]// 0000000061F8: D3F300D4 0F533164
	v_mfma_f32_16x16x32_fp8_fp8 v[212:215], a[102:103], v[154:155], v[212:215]// 000000006200: D3F300D4 0F533566
	v_mfma_f32_16x16x32_fp8_fp8 v[216:219], a[104:105], v[132:133], v[216:219]// 000000006208: D3F300D8 0F630968
	v_mfma_f32_16x16x32_fp8_fp8 v[216:219], a[106:107], v[134:135], v[216:219]// 000000006210: D3F300D8 0F630D6A
	buffer_load_dwordx4 a[24:27], v41, s[12:15], 0 offen       // 000000006218: E05C1000 80831829
	v_mfma_f32_16x16x32_fp8_fp8 v[220:223], a[104:105], v[152:153], v[220:223]// 000000006220: D3F300DC 0F733168
	v_mfma_f32_16x16x32_fp8_fp8 v[220:223], a[106:107], v[154:155], v[220:223]// 000000006228: D3F300DC 0F73356A
	v_mfma_f32_16x16x32_fp8_fp8 v[224:227], a[108:109], v[132:133], v[224:227]// 000000006230: D3F300E0 0F83096C
	v_mfma_f32_16x16x32_fp8_fp8 v[224:227], a[110:111], v[134:135], v[224:227]// 000000006238: D3F300E0 0F830D6E
	buffer_load_dwordx4 a[28:31], v42, s[12:15], 0 offen       // 000000006240: E05C1000 80831C2A
	s_add_u32 s12, s78, s12                                    // 000000006248: 800C0C4E
	s_addc_u32 s13, 0, s13                                     // 00000000624C: 820D0D80
	v_mfma_f32_16x16x32_fp8_fp8 v[228:231], a[108:109], v[152:153], v[228:231]// 000000006250: D3F300E4 0F93316C
	v_mfma_f32_16x16x32_fp8_fp8 v[228:231], a[110:111], v[154:155], v[228:231]// 000000006258: D3F300E4 0F93356E
	s_waitcnt vmcnt(17)                                        // 000000006260: BF8C4F71
	v_mfma_f32_16x16x32_fp8_fp8 v[200:203], a[112:113], v[136:137], v[200:203]// 000000006264: D3F300C8 0F231170
	ds_write_b64 v3, v[168:169] offset:18688                   // 00000000626C: D89A4900 0000A803
	v_mfma_f32_16x16x32_fp8_fp8 v[200:203], a[114:115], v[138:139], v[200:203]// 000000006274: D3F300C8 0F231572
	buffer_load_dwordx4 a[32:35], v39, s[12:15], 0 offen       // 00000000627C: E05C1000 80832027
	v_mfma_f32_16x16x32_fp8_fp8 v[204:207], a[112:113], v[156:157], v[204:207]// 000000006284: D3F300CC 0F333970
	ds_write_b64 v3, v[170:171] offset:27392                   // 00000000628C: D89A6B00 0000AA03
	v_mfma_f32_16x16x32_fp8_fp8 v[204:207], a[114:115], v[158:159], v[204:207]// 000000006294: D3F300CC 0F333D72
	v_mfma_f32_16x16x32_fp8_fp8 v[208:211], a[116:117], v[136:137], v[208:211]// 00000000629C: D3F300D0 0F431174
	ds_write_b64 v3, v[172:173] offset:20864                   // 0000000062A4: D89A5180 0000AC03
	v_mfma_f32_16x16x32_fp8_fp8 v[208:211], a[118:119], v[138:139], v[208:211]// 0000000062AC: D3F300D0 0F431576
	buffer_load_dwordx4 a[36:39], v40, s[12:15], 0 offen       // 0000000062B4: E05C1000 80832428
	v_mfma_f32_16x16x32_fp8_fp8 v[212:215], a[116:117], v[156:157], v[212:215]// 0000000062BC: D3F300D4 0F533974
	ds_write_b64 v3, v[174:175] offset:29568                   // 0000000062C4: D89A7380 0000AE03
	v_mfma_f32_16x16x32_fp8_fp8 v[212:215], a[118:119], v[158:159], v[212:215]// 0000000062CC: D3F300D4 0F533D76
	v_mfma_f32_16x16x32_fp8_fp8 v[216:219], a[120:121], v[136:137], v[216:219]// 0000000062D4: D3F300D8 0F631178
	ds_write_b64 v3, v[176:177] offset:23040                   // 0000000062DC: D89A5A00 0000B003
	v_mfma_f32_16x16x32_fp8_fp8 v[216:219], a[122:123], v[138:139], v[216:219]// 0000000062E4: D3F300D8 0F63157A
	buffer_load_dwordx4 a[40:43], v41, s[12:15], 0 offen       // 0000000062EC: E05C1000 80832829
	v_mfma_f32_16x16x32_fp8_fp8 v[220:223], a[120:121], v[156:157], v[220:223]// 0000000062F4: D3F300DC 0F733978
	ds_write_b64 v3, v[178:179] offset:31744                   // 0000000062FC: D89A7C00 0000B203
	v_mfma_f32_16x16x32_fp8_fp8 v[220:223], a[122:123], v[158:159], v[220:223]// 000000006304: D3F300DC 0F733D7A
	v_mfma_f32_16x16x32_fp8_fp8 v[224:227], a[124:125], v[136:137], v[224:227]// 00000000630C: D3F300E0 0F83117C
	ds_write_b64 v3, v[180:181] offset:25216                   // 000000006314: D89A6280 0000B403
	v_mfma_f32_16x16x32_fp8_fp8 v[224:227], a[126:127], v[138:139], v[224:227]// 00000000631C: D3F300E0 0F83157E
	buffer_load_dwordx4 a[44:47], v42, s[12:15], 0 offen       // 000000006324: E05C1000 80832C2A
	s_add_u32 s12, s78, s12                                    // 00000000632C: 800C0C4E
	s_addc_u32 s13, 0, s13                                     // 000000006330: 820D0D80
	v_mfma_f32_16x16x32_fp8_fp8 v[228:231], a[124:125], v[156:157], v[228:231]// 000000006334: D3F300E4 0F93397C
	ds_write_b64 v3, v[182:183] offset:33920                   // 00000000633C: D89A8480 0000B603
	v_mfma_f32_16x16x32_fp8_fp8 v[228:231], a[126:127], v[158:159], v[228:231]// 000000006344: D3F300E4 0F933D7E
	s_waitcnt vmcnt(17)                                        // 00000000634C: BF8C4F71
	v_mfma_f32_16x16x32_fp8_fp8 v[200:203], a[128:129], v[140:141], v[200:203]// 000000006350: D3F300C8 0F231980
	v_mfma_f32_16x16x32_fp8_fp8 v[200:203], a[130:131], v[142:143], v[200:203]// 000000006358: D3F300C8 0F231D82
	buffer_load_dwordx4 a[48:51], v39, s[12:15], 0 offen       // 000000006360: E05C1000 80833027
	v_mfma_f32_16x16x32_fp8_fp8 v[204:207], a[128:129], v[160:161], v[204:207]// 000000006368: D3F300CC 0F334180
	v_mfma_f32_16x16x32_fp8_fp8 v[204:207], a[130:131], v[162:163], v[204:207]// 000000006370: D3F300CC 0F334582
	v_mfma_f32_16x16x32_fp8_fp8 v[208:211], a[132:133], v[140:141], v[208:211]// 000000006378: D3F300D0 0F431984
	v_mfma_f32_16x16x32_fp8_fp8 v[208:211], a[134:135], v[142:143], v[208:211]// 000000006380: D3F300D0 0F431D86
	buffer_load_dwordx4 a[52:55], v40, s[12:15], 0 offen       // 000000006388: E05C1000 80833428
	v_mfma_f32_16x16x32_fp8_fp8 v[212:215], a[132:133], v[160:161], v[212:215]// 000000006390: D3F300D4 0F534184
	v_mfma_f32_16x16x32_fp8_fp8 v[212:215], a[134:135], v[162:163], v[212:215]// 000000006398: D3F300D4 0F534586
	v_mfma_f32_16x16x32_fp8_fp8 v[216:219], a[136:137], v[140:141], v[216:219]// 0000000063A0: D3F300D8 0F631988
	v_mfma_f32_16x16x32_fp8_fp8 v[216:219], a[138:139], v[142:143], v[216:219]// 0000000063A8: D3F300D8 0F631D8A
	buffer_load_dwordx4 a[56:59], v41, s[12:15], 0 offen       // 0000000063B0: E05C1000 80833829
	v_mfma_f32_16x16x32_fp8_fp8 v[220:223], a[136:137], v[160:161], v[220:223]// 0000000063B8: D3F300DC 0F734188
	v_mfma_f32_16x16x32_fp8_fp8 v[220:223], a[138:139], v[162:163], v[220:223]// 0000000063C0: D3F300DC 0F73458A
	v_mfma_f32_16x16x32_fp8_fp8 v[224:227], a[140:141], v[140:141], v[224:227]// 0000000063C8: D3F300E0 0F83198C
	v_mfma_f32_16x16x32_fp8_fp8 v[224:227], a[142:143], v[142:143], v[224:227]// 0000000063D0: D3F300E0 0F831D8E
	buffer_load_dwordx4 a[60:63], v42, s[12:15], 0 offen       // 0000000063D8: E05C1000 80833C2A
	s_add_u32 s12, s78, s12                                    // 0000000063E0: 800C0C4E
	s_addc_u32 s13, 0, s13                                     // 0000000063E4: 820D0D80
	v_mfma_f32_16x16x32_fp8_fp8 v[228:231], a[140:141], v[160:161], v[228:231]// 0000000063E8: D3F300E4 0F93418C
	v_mfma_f32_16x16x32_fp8_fp8 v[228:231], a[142:143], v[162:163], v[228:231]// 0000000063F0: D3F300E4 0F93458E
	s_waitcnt vmcnt(16)                                        // 0000000063F8: BF8C4F70
	v_mfma_f32_16x16x32_fp8_fp8 v[200:203], a[144:145], v[144:145], v[200:203]// 0000000063FC: D3F300C8 0F232190
	v_mfma_f32_16x16x32_fp8_fp8 v[200:203], a[146:147], v[146:147], v[200:203]// 000000006404: D3F300C8 0F232592
	buffer_load_dwordx4 a[64:67], v39, s[12:15], 0 offen       // 00000000640C: E05C1000 80834027
	v_mfma_f32_16x16x32_fp8_fp8 v[204:207], a[144:145], v[164:165], v[204:207]// 000000006414: D3F300CC 0F334990
	v_mfma_f32_16x16x32_fp8_fp8 v[204:207], a[146:147], v[166:167], v[204:207]// 00000000641C: D3F300CC 0F334D92
	buffer_load_dword v12, v5, s[16:19], 0 offen               // 000000006424: E0501000 80040C05
	v_mfma_f32_16x16x32_fp8_fp8 v[208:211], a[148:149], v[144:145], v[208:211]// 00000000642C: D3F300D0 0F432194
	v_mfma_f32_16x16x32_fp8_fp8 v[208:211], a[150:151], v[146:147], v[208:211]// 000000006434: D3F300D0 0F432596
	buffer_load_dwordx4 a[68:71], v40, s[12:15], 0 offen       // 00000000643C: E05C1000 80834428
	v_mfma_f32_16x16x32_fp8_fp8 v[212:215], a[148:149], v[164:165], v[212:215]// 000000006444: D3F300D4 0F534994
	v_mfma_f32_16x16x32_fp8_fp8 v[212:215], a[150:151], v[166:167], v[212:215]// 00000000644C: D3F300D4 0F534D96
	v_mfma_f32_16x16x32_fp8_fp8 v[216:219], a[152:153], v[144:145], v[216:219]// 000000006454: D3F300D8 0F632198
	v_mfma_f32_16x16x32_fp8_fp8 v[216:219], a[154:155], v[146:147], v[216:219]// 00000000645C: D3F300D8 0F63259A
	buffer_load_dwordx4 a[72:75], v41, s[12:15], 0 offen       // 000000006464: E05C1000 80834829
	v_mfma_f32_16x16x32_fp8_fp8 v[220:223], a[152:153], v[164:165], v[220:223]// 00000000646C: D3F300DC 0F734998
	v_mfma_f32_16x16x32_fp8_fp8 v[220:223], a[154:155], v[166:167], v[220:223]// 000000006474: D3F300DC 0F734D9A
	v_mfma_f32_16x16x32_fp8_fp8 v[224:227], a[156:157], v[144:145], v[224:227]// 00000000647C: D3F300E0 0F83219C
	v_mfma_f32_16x16x32_fp8_fp8 v[224:227], a[158:159], v[146:147], v[224:227]// 000000006484: D3F300E0 0F83259E
	buffer_load_dwordx4 a[76:79], v42, s[12:15], 0 offen       // 00000000648C: E05C1000 80834C2A
	v_mfma_f32_16x16x32_fp8_fp8 v[228:231], a[156:157], v[164:165], v[228:231]// 000000006494: D3F300E4 0F93499C
	v_mfma_f32_16x16x32_fp8_fp8 v[228:231], a[158:159], v[166:167], v[228:231]// 00000000649C: D3F300E4 0F934D9E
	s_add_u32 s60, 0x200, s80                                  // 0000000064A4: 803C50FF 00000200
	s_cmp_lt_u32 s60, s81                                      // 0000000064AC: BF0A513C
	s_cselect_b32 s56, s56, 0                                  // 0000000064B0: 85388038
	s_cselect_b32 s78, s78, 0                                  // 0000000064B4: 854E804E
	s_cselect_b32 s79, s79, 0                                  // 0000000064B8: 854F804F
	s_add_u32 s12, s56, s12                                    // 0000000064BC: 800C0C38
	s_addc_u32 s13, 0, s13                                     // 0000000064C0: 820D0D80
	s_add_u32 s16, s79, s16                                    // 0000000064C4: 8010104F
	s_addc_u32 s17, 0, s17                                     // 0000000064C8: 82111180
	v_mul_f32_e32 v200, v24, v200                              // 0000000064CC: 0B919118
	v_mul_f32_e32 v201, v24, v201                              // 0000000064D0: 0B939318
	v_mul_f32_e32 v202, v24, v202                              // 0000000064D4: 0B959518
	v_mul_f32_e32 v203, v24, v203                              // 0000000064D8: 0B979718
	v_mul_f32_dpp v200, v13, v200 row_newbcast:0 row_mask:0xf bank_mask:0xf// 0000000064DC: 0B9190FA FF01500D
	v_mul_f32_dpp v201, v13, v201 row_newbcast:1 row_mask:0xf bank_mask:0xf// 0000000064E4: 0B9392FA FF01510D
	v_mul_f32_dpp v202, v13, v202 row_newbcast:2 row_mask:0xf bank_mask:0xf// 0000000064EC: 0B9594FA FF01520D
	v_mul_f32_dpp v203, v13, v203 row_newbcast:3 row_mask:0xf bank_mask:0xf// 0000000064F4: 0B9796FA FF01530D
	v_mul_f32_e32 v200, v20, v200                              // 0000000064FC: 0B919114
	v_mul_f32_e32 v201, v20, v201                              // 000000006500: 0B939314
	v_mul_f32_e32 v202, v20, v202                              // 000000006504: 0B959514
	v_mul_f32_e32 v203, v20, v203                              // 000000006508: 0B979714
	v_mul_f32_e32 v204, v25, v204                              // 00000000650C: 0B999919
	v_mul_f32_e32 v205, v25, v205                              // 000000006510: 0B9B9B19
	v_mul_f32_e32 v206, v25, v206                              // 000000006514: 0B9D9D19
	v_mul_f32_e32 v207, v25, v207                              // 000000006518: 0B9F9F19
	v_mul_f32_dpp v204, v13, v204 row_newbcast:0 row_mask:0xf bank_mask:0xf// 00000000651C: 0B9998FA FF01500D
	v_mul_f32_dpp v205, v13, v205 row_newbcast:1 row_mask:0xf bank_mask:0xf// 000000006524: 0B9B9AFA FF01510D
	v_mul_f32_dpp v206, v13, v206 row_newbcast:2 row_mask:0xf bank_mask:0xf// 00000000652C: 0B9D9CFA FF01520D
	v_mul_f32_dpp v207, v13, v207 row_newbcast:3 row_mask:0xf bank_mask:0xf// 000000006534: 0B9F9EFA FF01530D
	v_mul_f32_e32 v204, v21, v204                              // 00000000653C: 0B999915
	v_mul_f32_e32 v205, v21, v205                              // 000000006540: 0B9B9B15
	v_mul_f32_e32 v206, v21, v206                              // 000000006544: 0B9D9D15
	v_mul_f32_e32 v207, v21, v207                              // 000000006548: 0B9F9F15
	v_mul_f32_e32 v208, v24, v208                              // 00000000654C: 0BA1A118
	v_mul_f32_e32 v209, v24, v209                              // 000000006550: 0BA3A318
	v_mul_f32_e32 v210, v24, v210                              // 000000006554: 0BA5A518
	v_mul_f32_e32 v211, v24, v211                              // 000000006558: 0BA7A718
	v_mul_f32_dpp v208, v13, v208 row_newbcast:4 row_mask:0xf bank_mask:0xf// 00000000655C: 0BA1A0FA FF01540D
	v_mul_f32_dpp v209, v13, v209 row_newbcast:5 row_mask:0xf bank_mask:0xf// 000000006564: 0BA3A2FA FF01550D
	v_mul_f32_dpp v210, v13, v210 row_newbcast:6 row_mask:0xf bank_mask:0xf// 00000000656C: 0BA5A4FA FF01560D
	v_mul_f32_dpp v211, v13, v211 row_newbcast:7 row_mask:0xf bank_mask:0xf// 000000006574: 0BA7A6FA FF01570D
	v_mul_f32_e32 v208, v20, v208                              // 00000000657C: 0BA1A114
	v_mul_f32_e32 v209, v20, v209                              // 000000006580: 0BA3A314
	v_mul_f32_e32 v210, v20, v210                              // 000000006584: 0BA5A514
	v_mul_f32_e32 v211, v20, v211                              // 000000006588: 0BA7A714
	v_mul_f32_e32 v212, v25, v212                              // 00000000658C: 0BA9A919
	v_mul_f32_e32 v213, v25, v213                              // 000000006590: 0BABAB19
	v_mul_f32_e32 v214, v25, v214                              // 000000006594: 0BADAD19
	v_mul_f32_e32 v215, v25, v215                              // 000000006598: 0BAFAF19
	v_mul_f32_dpp v212, v13, v212 row_newbcast:4 row_mask:0xf bank_mask:0xf// 00000000659C: 0BA9A8FA FF01540D
	v_mul_f32_dpp v213, v13, v213 row_newbcast:5 row_mask:0xf bank_mask:0xf// 0000000065A4: 0BABAAFA FF01550D
	v_mul_f32_dpp v214, v13, v214 row_newbcast:6 row_mask:0xf bank_mask:0xf// 0000000065AC: 0BADACFA FF01560D
	v_mul_f32_dpp v215, v13, v215 row_newbcast:7 row_mask:0xf bank_mask:0xf// 0000000065B4: 0BAFAEFA FF01570D
	v_mul_f32_e32 v212, v21, v212                              // 0000000065BC: 0BA9A915
	v_mul_f32_e32 v213, v21, v213                              // 0000000065C0: 0BABAB15
	v_mul_f32_e32 v214, v21, v214                              // 0000000065C4: 0BADAD15
	v_mul_f32_e32 v215, v21, v215                              // 0000000065C8: 0BAFAF15
	v_mul_f32_e32 v216, v24, v216                              // 0000000065CC: 0BB1B118
	v_mul_f32_e32 v217, v24, v217                              // 0000000065D0: 0BB3B318
	v_mul_f32_e32 v218, v24, v218                              // 0000000065D4: 0BB5B518
	v_mul_f32_e32 v219, v24, v219                              // 0000000065D8: 0BB7B718
	v_mul_f32_dpp v216, v13, v216 row_newbcast:8 row_mask:0xf bank_mask:0xf// 0000000065DC: 0BB1B0FA FF01580D
	v_mul_f32_dpp v217, v13, v217 row_newbcast:9 row_mask:0xf bank_mask:0xf// 0000000065E4: 0BB3B2FA FF01590D
	v_mul_f32_dpp v218, v13, v218 row_newbcast:10 row_mask:0xf bank_mask:0xf// 0000000065EC: 0BB5B4FA FF015A0D
	v_mul_f32_dpp v219, v13, v219 row_newbcast:11 row_mask:0xf bank_mask:0xf// 0000000065F4: 0BB7B6FA FF015B0D
	v_mul_f32_e32 v216, v20, v216                              // 0000000065FC: 0BB1B114
	v_mul_f32_e32 v217, v20, v217                              // 000000006600: 0BB3B314
	v_mul_f32_e32 v218, v20, v218                              // 000000006604: 0BB5B514
	v_mul_f32_e32 v219, v20, v219                              // 000000006608: 0BB7B714
	v_mul_f32_e32 v220, v25, v220                              // 00000000660C: 0BB9B919
	v_mul_f32_e32 v221, v25, v221                              // 000000006610: 0BBBBB19
	v_mul_f32_e32 v222, v25, v222                              // 000000006614: 0BBDBD19
	v_mul_f32_e32 v223, v25, v223                              // 000000006618: 0BBFBF19
	v_mul_f32_dpp v220, v13, v220 row_newbcast:8 row_mask:0xf bank_mask:0xf// 00000000661C: 0BB9B8FA FF01580D
	v_mul_f32_dpp v221, v13, v221 row_newbcast:9 row_mask:0xf bank_mask:0xf// 000000006624: 0BBBBAFA FF01590D
	v_mul_f32_dpp v222, v13, v222 row_newbcast:10 row_mask:0xf bank_mask:0xf// 00000000662C: 0BBDBCFA FF015A0D
	v_mul_f32_dpp v223, v13, v223 row_newbcast:11 row_mask:0xf bank_mask:0xf// 000000006634: 0BBFBEFA FF015B0D
	v_mul_f32_e32 v220, v21, v220                              // 00000000663C: 0BB9B915
	v_mul_f32_e32 v221, v21, v221                              // 000000006640: 0BBBBB15
	v_mul_f32_e32 v222, v21, v222                              // 000000006644: 0BBDBD15
	v_mul_f32_e32 v223, v21, v223                              // 000000006648: 0BBFBF15
	v_mul_f32_e32 v224, v24, v224                              // 00000000664C: 0BC1C118
	v_mul_f32_e32 v225, v24, v225                              // 000000006650: 0BC3C318
	v_mul_f32_e32 v226, v24, v226                              // 000000006654: 0BC5C518
	v_mul_f32_e32 v227, v24, v227                              // 000000006658: 0BC7C718
	v_mul_f32_dpp v224, v13, v224 row_newbcast:12 row_mask:0xf bank_mask:0xf// 00000000665C: 0BC1C0FA FF015C0D
	v_mul_f32_dpp v225, v13, v225 row_newbcast:13 row_mask:0xf bank_mask:0xf// 000000006664: 0BC3C2FA FF015D0D
	v_mul_f32_dpp v226, v13, v226 row_newbcast:14 row_mask:0xf bank_mask:0xf// 00000000666C: 0BC5C4FA FF015E0D
	v_mul_f32_dpp v227, v13, v227 row_newbcast:15 row_mask:0xf bank_mask:0xf// 000000006674: 0BC7C6FA FF015F0D
	v_mul_f32_e32 v224, v20, v224                              // 00000000667C: 0BC1C114
	v_mul_f32_e32 v225, v20, v225                              // 000000006680: 0BC3C314
	v_mul_f32_e32 v226, v20, v226                              // 000000006684: 0BC5C514
	v_mul_f32_e32 v227, v20, v227                              // 000000006688: 0BC7C714
	v_mul_f32_e32 v228, v25, v228                              // 00000000668C: 0BC9C919
	v_mul_f32_e32 v229, v25, v229                              // 000000006690: 0BCBCB19
	v_mul_f32_e32 v230, v25, v230                              // 000000006694: 0BCDCD19
	v_mul_f32_e32 v231, v25, v231                              // 000000006698: 0BCFCF19
	v_mul_f32_dpp v228, v13, v228 row_newbcast:12 row_mask:0xf bank_mask:0xf// 00000000669C: 0BC9C8FA FF015C0D
	v_mul_f32_dpp v229, v13, v229 row_newbcast:13 row_mask:0xf bank_mask:0xf// 0000000066A4: 0BCBCAFA FF015D0D
	v_mul_f32_dpp v230, v13, v230 row_newbcast:14 row_mask:0xf bank_mask:0xf// 0000000066AC: 0BCDCCFA FF015E0D
	v_mul_f32_dpp v231, v13, v231 row_newbcast:15 row_mask:0xf bank_mask:0xf// 0000000066B4: 0BCFCEFA FF015F0D
	v_mul_f32_e32 v228, v21, v228                              // 0000000066BC: 0BC9C915
	v_mul_f32_e32 v229, v21, v229                              // 0000000066C0: 0BCBCB15
	v_mul_f32_e32 v230, v21, v230                              // 0000000066C4: 0BCDCD15
	v_mul_f32_e32 v231, v21, v231                              // 0000000066C8: 0BCFCF15
	v_cvt_pkrtz_f16_f32 v200, v200, v201                       // 0000000066CC: D29600C8 000393C8
	v_cvt_pkrtz_f16_f32 v201, v202, v203                       // 0000000066D4: D29600C9 000397CA
	v_cvt_pkrtz_f16_f32 v202, v204, v205                       // 0000000066DC: D29600CA 00039BCC
	v_cvt_pkrtz_f16_f32 v203, v206, v207                       // 0000000066E4: D29600CB 00039FCE
	v_cvt_pkrtz_f16_f32 v204, v208, v209                       // 0000000066EC: D29600CC 0003A3D0
	v_cvt_pkrtz_f16_f32 v205, v210, v211                       // 0000000066F4: D29600CD 0003A7D2
	v_cvt_pkrtz_f16_f32 v206, v212, v213                       // 0000000066FC: D29600CE 0003ABD4
	v_cvt_pkrtz_f16_f32 v207, v214, v215                       // 000000006704: D29600CF 0003AFD6
	v_cvt_pkrtz_f16_f32 v208, v216, v217                       // 00000000670C: D29600D0 0003B3D8
	v_cvt_pkrtz_f16_f32 v209, v218, v219                       // 000000006714: D29600D1 0003B7DA
	v_cvt_pkrtz_f16_f32 v210, v220, v221                       // 00000000671C: D29600D2 0003BBDC
	v_cvt_pkrtz_f16_f32 v211, v222, v223                       // 000000006724: D29600D3 0003BFDE
	v_cvt_pkrtz_f16_f32 v212, v224, v225                       // 00000000672C: D29600D4 0003C3E0
	v_cvt_pkrtz_f16_f32 v213, v226, v227                       // 000000006734: D29600D5 0003C7E2
	v_cvt_pkrtz_f16_f32 v214, v228, v229                       // 00000000673C: D29600D6 0003CBE4
	v_cvt_pkrtz_f16_f32 v215, v230, v231                       // 000000006744: D29600D7 0003CFE6
	s_cmp_ge_u32 s80, 0x200                                    // 00000000674C: BF09FF50 00000200
	s_cselect_b32 s59, 0x200, s59                              // 000000006754: 853B3BFF 00000200
	s_setvskip s20, 0                                          // 00000000675C: BF108014
	global_atomic_pk_add_f16 v80, v64, s[8:9]                  // 000000006760: DD388000 00084050
	s_setvskip 0, 0                                            // 000000006768: BF108080
	s_setvskip s20, 0                                          // 00000000676C: BF108014
	global_atomic_pk_add_f16 v80, v65, s[8:9] offset:256       // 000000006770: DD388100 00084150
	s_setvskip 0, 0                                            // 000000006778: BF108080
	s_setvskip s20, 1                                          // 00000000677C: BF108114
	global_atomic_pk_add_f16 v82, v66, s[8:9]                  // 000000006780: DD388000 00084252
	s_setvskip 0, 0                                            // 000000006788: BF108080
	s_setvskip s20, 1                                          // 00000000678C: BF108114
	global_atomic_pk_add_f16 v82, v67, s[8:9] offset:256       // 000000006790: DD388100 00084352
	s_setvskip 0, 0                                            // 000000006798: BF108080
	s_setvskip s20, 2                                          // 00000000679C: BF108214
	global_atomic_pk_add_f16 v84, v68, s[8:9]                  // 0000000067A0: DD388000 00084454
	s_setvskip 0, 0                                            // 0000000067A8: BF108080
	s_setvskip s20, 2                                          // 0000000067AC: BF108214
	global_atomic_pk_add_f16 v84, v69, s[8:9] offset:256       // 0000000067B0: DD388100 00084554
	s_setvskip 0, 0                                            // 0000000067B8: BF108080
	s_setvskip s20, 3                                          // 0000000067BC: BF108314
	global_atomic_pk_add_f16 v86, v70, s[8:9]                  // 0000000067C0: DD388000 00084656
	s_setvskip 0, 0                                            // 0000000067C8: BF108080
	s_setvskip s20, 3                                          // 0000000067CC: BF108314
	global_atomic_pk_add_f16 v86, v71, s[8:9] offset:256       // 0000000067D0: DD388100 00084756
	s_setvskip 0, 0                                            // 0000000067D8: BF108080
	s_setvskip s20, 4                                          // 0000000067DC: BF108414
	global_atomic_pk_add_f16 v88, v72, s[8:9]                  // 0000000067E0: DD388000 00084858
	s_setvskip 0, 0                                            // 0000000067E8: BF108080
	s_setvskip s20, 4                                          // 0000000067EC: BF108414
	global_atomic_pk_add_f16 v88, v73, s[8:9] offset:256       // 0000000067F0: DD388100 00084958
	s_setvskip 0, 0                                            // 0000000067F8: BF108080
	s_setvskip s20, 5                                          // 0000000067FC: BF108514
	global_atomic_pk_add_f16 v90, v74, s[8:9]                  // 000000006800: DD388000 00084A5A
	s_setvskip 0, 0                                            // 000000006808: BF108080
	s_setvskip s20, 5                                          // 00000000680C: BF108514
	global_atomic_pk_add_f16 v90, v75, s[8:9] offset:256       // 000000006810: DD388100 00084B5A
	s_setvskip 0, 0                                            // 000000006818: BF108080
	s_setvskip s20, 6                                          // 00000000681C: BF108614
	global_atomic_pk_add_f16 v92, v76, s[8:9]                  // 000000006820: DD388000 00084C5C
	s_setvskip 0, 0                                            // 000000006828: BF108080
	s_setvskip s20, 6                                          // 00000000682C: BF108614
	global_atomic_pk_add_f16 v92, v77, s[8:9] offset:256       // 000000006830: DD388100 00084D5C
	s_setvskip 0, 0                                            // 000000006838: BF108080
	s_setvskip s20, 7                                          // 00000000683C: BF108714
	global_atomic_pk_add_f16 v94, v78, s[8:9]                  // 000000006840: DD388000 00084E5E
	s_setvskip 0, 0                                            // 000000006848: BF108080
	s_setvskip s20, 7                                          // 00000000684C: BF108714
	global_atomic_pk_add_f16 v94, v79, s[8:9] offset:256       // 000000006850: DD388100 00084F5E
	s_setvskip 0, 0                                            // 000000006858: BF108080
	s_add_u32 s8, s59, s8                                      // 00000000685C: 8008083B
	s_addc_u32 s9, 0, s9                                       // 000000006860: 82090980
	s_addk_i32 s80, 0x100                                      // 000000006864: B7500100
	s_cmp_lt_i32 s80, s81                                      // 000000006868: BF045150
	s_cbranch_scc0 label_0E9D                                  // 00000000686C: BF840001
	s_branch label_0AA6                                        // 000000006870: BF82FC09

0000000000006874 <label_0E9D>:
	s_nop 0                                                    // 000000006874: BF800000
	s_nop 0                                                    // 000000006878: BF800000
	s_branch label_1AE5                                        // 00000000687C: BF820C45

0000000000006880 <label_0EA0>:
	s_waitcnt vmcnt(12) lgkmcnt(0)                             // 000000006880: BF8C007C
	s_barrier                                                  // 000000006884: BF8A0000
	v_mfma_f32_16x16x32_fp8_fp8 v[128:131], a[0:1], v[168:169], v[128:131]// 000000006888: D3F30080 0E035100
	buffer_load_dwordx4 a[80:83], v34, s[92:95], 0 offen       // 000000006890: E05C1000 80975022
	v_mfma_f32_16x16x32_fp8_fp8 v[128:131], a[2:3], v[170:171], v[128:131]// 000000006898: D3F30080 0E035502
	v_mfma_f32_16x16x32_fp8_fp8 v[128:131], a[4:5], v[172:173], v[128:131]// 0000000068A0: D3F30080 0E035904
	buffer_load_dword v26, s[20:23], 0 offen lds               // 0000000068A8: E0511000 8005001A
	s_add_u32 m0, 0x100, s51                                   // 0000000068B0: 807C33FF 00000100
	v_mfma_f32_16x16x32_fp8_fp8 v[128:131], a[6:7], v[174:175], v[128:131]// 0000000068B8: D3F30080 0E035D06
	v_mfma_f32_16x16x32_fp8_fp8 v[128:131], a[8:9], v[176:177], v[128:131]// 0000000068C0: D3F30080 0E036108
	buffer_load_dwordx4 a[84:87], v34, s[92:95], 0 offen offset:1024// 0000000068C8: E05C1400 80975422
	v_mfma_f32_16x16x32_fp8_fp8 v[128:131], a[10:11], v[178:179], v[128:131]// 0000000068D0: D3F30080 0E03650A
	v_mfma_f32_16x16x32_fp8_fp8 v[128:131], a[12:13], v[180:181], v[128:131]// 0000000068D8: D3F30080 0E03690C
	buffer_load_dword v27, s[20:23], 0 offen lds               // 0000000068E0: E0511000 8005001B
	s_add_u32 m0, 0x200, s51                                   // 0000000068E8: 807C33FF 00000200
	v_mfma_f32_16x16x32_fp8_fp8 v[128:131], a[14:15], v[182:183], v[128:131]// 0000000068F0: D3F30080 0E036D0E
	v_mfma_f32_16x16x32_fp8_fp8 v[132:135], a[0:1], v[184:185], v[132:135]// 0000000068F8: D3F30084 0E137100
	buffer_load_dwordx4 a[88:91], v34, s[92:95], 0 offen offset:2048// 000000006900: E05C1800 80975822
	v_mfma_f32_16x16x32_fp8_fp8 v[132:135], a[2:3], v[186:187], v[132:135]// 000000006908: D3F30084 0E137502
	v_mfma_f32_16x16x32_fp8_fp8 v[132:135], a[4:5], v[188:189], v[132:135]// 000000006910: D3F30084 0E137904
	buffer_load_dword v28, s[20:23], 0 offen lds               // 000000006918: E0511000 8005001C
	s_add_u32 m0, 0x300, s51                                   // 000000006920: 807C33FF 00000300
	v_mfma_f32_16x16x32_fp8_fp8 v[132:135], a[6:7], v[190:191], v[132:135]// 000000006928: D3F30084 0E137D06
	v_mfma_f32_16x16x32_fp8_fp8 v[132:135], a[8:9], v[192:193], v[132:135]// 000000006930: D3F30084 0E138108
	buffer_load_dwordx4 a[92:95], v34, s[92:95], 0 offen offset:3072// 000000006938: E05C1C00 80975C22
	v_mfma_f32_16x16x32_fp8_fp8 v[132:135], a[10:11], v[194:195], v[132:135]// 000000006940: D3F30084 0E13850A
	v_mfma_f32_16x16x32_fp8_fp8 v[132:135], a[12:13], v[196:197], v[132:135]// 000000006948: D3F30084 0E13890C
	buffer_load_dword v29, s[20:23], 0 offen lds               // 000000006950: E0511000 8005001D
	s_add_u32 m0, 0x400, s51                                   // 000000006958: 807C33FF 00000400
	v_mfma_f32_16x16x32_fp8_fp8 v[132:135], a[14:15], v[198:199], v[132:135]// 000000006960: D3F30084 0E138D0E
	v_mfma_f32_16x16x32_fp8_fp8 v[136:139], a[16:17], v[168:169], v[136:139]// 000000006968: D3F30088 0E235110
	buffer_load_dwordx4 a[96:99], v35, s[92:95], 0 offen       // 000000006970: E05C1000 80976023
	v_mfma_f32_16x16x32_fp8_fp8 v[136:139], a[18:19], v[170:171], v[136:139]// 000000006978: D3F30088 0E235512
	v_mfma_f32_16x16x32_fp8_fp8 v[136:139], a[20:21], v[172:173], v[136:139]// 000000006980: D3F30088 0E235914
	buffer_load_dword v30, s[20:23], 0 offen lds               // 000000006988: E0511000 8005001E
	s_add_u32 m0, 0x500, s51                                   // 000000006990: 807C33FF 00000500
	v_mfma_f32_16x16x32_fp8_fp8 v[136:139], a[22:23], v[174:175], v[136:139]// 000000006998: D3F30088 0E235D16
	v_mfma_f32_16x16x32_fp8_fp8 v[136:139], a[24:25], v[176:177], v[136:139]// 0000000069A0: D3F30088 0E236118
	buffer_load_dwordx4 a[100:103], v35, s[92:95], 0 offen offset:1024// 0000000069A8: E05C1400 80976423
	v_mfma_f32_16x16x32_fp8_fp8 v[136:139], a[26:27], v[178:179], v[136:139]// 0000000069B0: D3F30088 0E23651A
	v_mfma_f32_16x16x32_fp8_fp8 v[136:139], a[28:29], v[180:181], v[136:139]// 0000000069B8: D3F30088 0E23691C
	buffer_load_dword v31, s[20:23], 0 offen lds               // 0000000069C0: E0511000 8005001F
	s_add_u32 m0, 0x600, s51                                   // 0000000069C8: 807C33FF 00000600
	v_mfma_f32_16x16x32_fp8_fp8 v[136:139], a[30:31], v[182:183], v[136:139]// 0000000069D0: D3F30088 0E236D1E
	v_mfma_f32_16x16x32_fp8_fp8 v[140:143], a[16:17], v[184:185], v[140:143]// 0000000069D8: D3F3008C 0E337110
	buffer_load_dwordx4 a[104:107], v35, s[92:95], 0 offen offset:2048// 0000000069E0: E05C1800 80976823
	v_mfma_f32_16x16x32_fp8_fp8 v[140:143], a[18:19], v[186:187], v[140:143]// 0000000069E8: D3F3008C 0E337512
	v_mfma_f32_16x16x32_fp8_fp8 v[140:143], a[20:21], v[188:189], v[140:143]// 0000000069F0: D3F3008C 0E337914
	buffer_load_dword v32, s[20:23], 0 offen lds               // 0000000069F8: E0511000 80050020
	s_add_u32 m0, 0x700, s51                                   // 000000006A00: 807C33FF 00000700
	v_mfma_f32_16x16x32_fp8_fp8 v[140:143], a[22:23], v[190:191], v[140:143]// 000000006A08: D3F3008C 0E337D16
	v_mfma_f32_16x16x32_fp8_fp8 v[140:143], a[24:25], v[192:193], v[140:143]// 000000006A10: D3F3008C 0E338118
	buffer_load_dwordx4 a[108:111], v35, s[92:95], 0 offen offset:3072// 000000006A18: E05C1C00 80976C23
	v_mfma_f32_16x16x32_fp8_fp8 v[140:143], a[26:27], v[194:195], v[140:143]// 000000006A20: D3F3008C 0E33851A
	v_mfma_f32_16x16x32_fp8_fp8 v[140:143], a[28:29], v[196:197], v[140:143]// 000000006A28: D3F3008C 0E33891C
	buffer_load_dword v33, s[20:23], 0 offen lds               // 000000006A30: E0511000 80050021
	s_add_u32 m0, 0, s50                                       // 000000006A38: 807C3280
	v_mfma_f32_16x16x32_fp8_fp8 v[140:143], a[30:31], v[198:199], v[140:143]// 000000006A3C: D3F3008C 0E338D1E
	s_waitcnt vmcnt(24)                                        // 000000006A44: BF8C4F78
	v_mfma_f32_16x16x32_fp8_fp8 v[144:147], a[32:33], v[168:169], v[144:147]// 000000006A48: D3F30090 0E435120
	buffer_load_dwordx4 a[112:115], v36, s[92:95], 0 offen     // 000000006A50: E05C1000 80977024
	v_mfma_f32_16x16x32_fp8_fp8 v[144:147], a[34:35], v[170:171], v[144:147]// 000000006A58: D3F30090 0E435522
	v_mfma_f32_16x16x32_fp8_fp8 v[144:147], a[36:37], v[172:173], v[144:147]// 000000006A60: D3F30090 0E435924
	v_mfma_f32_16x16x32_fp8_fp8 v[144:147], a[38:39], v[174:175], v[144:147]// 000000006A68: D3F30090 0E435D26
	v_mfma_f32_16x16x32_fp8_fp8 v[144:147], a[40:41], v[176:177], v[144:147]// 000000006A70: D3F30090 0E436128
	buffer_load_dwordx4 a[116:119], v36, s[92:95], 0 offen offset:1024// 000000006A78: E05C1400 80977424
	v_mfma_f32_16x16x32_fp8_fp8 v[144:147], a[42:43], v[178:179], v[144:147]// 000000006A80: D3F30090 0E43652A
	v_mfma_f32_16x16x32_fp8_fp8 v[144:147], a[44:45], v[180:181], v[144:147]// 000000006A88: D3F30090 0E43692C
	v_mfma_f32_16x16x32_fp8_fp8 v[144:147], a[46:47], v[182:183], v[144:147]// 000000006A90: D3F30090 0E436D2E
	v_mfma_f32_16x16x32_fp8_fp8 v[148:151], a[32:33], v[184:185], v[148:151]// 000000006A98: D3F30094 0E537120
	buffer_load_dwordx4 a[120:123], v36, s[92:95], 0 offen offset:2048// 000000006AA0: E05C1800 80977824
	v_mfma_f32_16x16x32_fp8_fp8 v[148:151], a[34:35], v[186:187], v[148:151]// 000000006AA8: D3F30094 0E537522
	v_mfma_f32_16x16x32_fp8_fp8 v[148:151], a[36:37], v[188:189], v[148:151]// 000000006AB0: D3F30094 0E537924
	v_mfma_f32_16x16x32_fp8_fp8 v[148:151], a[38:39], v[190:191], v[148:151]// 000000006AB8: D3F30094 0E537D26
	v_mfma_f32_16x16x32_fp8_fp8 v[148:151], a[40:41], v[192:193], v[148:151]// 000000006AC0: D3F30094 0E538128
	buffer_load_dwordx4 a[124:127], v36, s[92:95], 0 offen offset:3072// 000000006AC8: E05C1C00 80977C24
	v_mfma_f32_16x16x32_fp8_fp8 v[148:151], a[42:43], v[194:195], v[148:151]// 000000006AD0: D3F30094 0E53852A
	v_mfma_f32_16x16x32_fp8_fp8 v[148:151], a[44:45], v[196:197], v[148:151]// 000000006AD8: D3F30094 0E53892C
	v_mfma_f32_16x16x32_fp8_fp8 v[148:151], a[46:47], v[198:199], v[148:151]// 000000006AE0: D3F30094 0E538D2E
	s_waitcnt vmcnt(24)                                        // 000000006AE8: BF8C4F78
	v_mfma_f32_16x16x32_fp8_fp8 v[152:155], a[48:49], v[168:169], v[152:155]// 000000006AEC: D3F30098 0E635130
	buffer_load_dwordx4 a[128:131], v37, s[92:95], 0 offen     // 000000006AF4: E05C1000 80978025
	v_mfma_f32_16x16x32_fp8_fp8 v[152:155], a[50:51], v[170:171], v[152:155]// 000000006AFC: D3F30098 0E635532
	v_mfma_f32_16x16x32_fp8_fp8 v[152:155], a[52:53], v[172:173], v[152:155]// 000000006B04: D3F30098 0E635934
	v_mfma_f32_16x16x32_fp8_fp8 v[152:155], a[54:55], v[174:175], v[152:155]// 000000006B0C: D3F30098 0E635D36
	v_mfma_f32_16x16x32_fp8_fp8 v[152:155], a[56:57], v[176:177], v[152:155]// 000000006B14: D3F30098 0E636138
	buffer_load_dwordx4 a[132:135], v37, s[92:95], 0 offen offset:1024// 000000006B1C: E05C1400 80978425
	v_mfma_f32_16x16x32_fp8_fp8 v[152:155], a[58:59], v[178:179], v[152:155]// 000000006B24: D3F30098 0E63653A
	v_mfma_f32_16x16x32_fp8_fp8 v[152:155], a[60:61], v[180:181], v[152:155]// 000000006B2C: D3F30098 0E63693C
	v_mfma_f32_16x16x32_fp8_fp8 v[152:155], a[62:63], v[182:183], v[152:155]// 000000006B34: D3F30098 0E636D3E
	v_mfma_f32_16x16x32_fp8_fp8 v[156:159], a[48:49], v[184:185], v[156:159]// 000000006B3C: D3F3009C 0E737130
	buffer_load_dwordx4 a[136:139], v37, s[92:95], 0 offen offset:2048// 000000006B44: E05C1800 80978825
	v_mfma_f32_16x16x32_fp8_fp8 v[156:159], a[50:51], v[186:187], v[156:159]// 000000006B4C: D3F3009C 0E737532
	v_mfma_f32_16x16x32_fp8_fp8 v[156:159], a[52:53], v[188:189], v[156:159]// 000000006B54: D3F3009C 0E737934
	v_mfma_f32_16x16x32_fp8_fp8 v[156:159], a[54:55], v[190:191], v[156:159]// 000000006B5C: D3F3009C 0E737D36
	v_mfma_f32_16x16x32_fp8_fp8 v[156:159], a[56:57], v[192:193], v[156:159]// 000000006B64: D3F3009C 0E738138
	buffer_load_dwordx4 a[140:143], v37, s[92:95], 0 offen offset:3072// 000000006B6C: E05C1C00 80978C25
	v_mfma_f32_16x16x32_fp8_fp8 v[156:159], a[58:59], v[194:195], v[156:159]// 000000006B74: D3F3009C 0E73853A
	v_mfma_f32_16x16x32_fp8_fp8 v[156:159], a[60:61], v[196:197], v[156:159]// 000000006B7C: D3F3009C 0E73893C
	v_mfma_f32_16x16x32_fp8_fp8 v[156:159], a[62:63], v[198:199], v[156:159]// 000000006B84: D3F3009C 0E738D3E
	s_waitcnt vmcnt(24)                                        // 000000006B8C: BF8C4F78
	v_mfma_f32_16x16x32_fp8_fp8 v[160:163], a[64:65], v[168:169], v[160:163]// 000000006B90: D3F300A0 0E835140
	buffer_load_dwordx4 a[144:147], v38, s[92:95], 0 offen     // 000000006B98: E05C1000 80979026
	v_mfma_f32_16x16x32_fp8_fp8 v[160:163], a[66:67], v[170:171], v[160:163]// 000000006BA0: D3F300A0 0E835542
	v_mfma_f32_16x16x32_fp8_fp8 v[160:163], a[68:69], v[172:173], v[160:163]// 000000006BA8: D3F300A0 0E835944
	v_mfma_f32_16x16x32_fp8_fp8 v[160:163], a[70:71], v[174:175], v[160:163]// 000000006BB0: D3F300A0 0E835D46
	v_mfma_f32_16x16x32_fp8_fp8 v[160:163], a[72:73], v[176:177], v[160:163]// 000000006BB8: D3F300A0 0E836148
	buffer_load_dwordx4 a[148:151], v38, s[92:95], 0 offen offset:1024// 000000006BC0: E05C1400 80979426
	v_mfma_f32_16x16x32_fp8_fp8 v[160:163], a[74:75], v[178:179], v[160:163]// 000000006BC8: D3F300A0 0E83654A
	v_mfma_f32_16x16x32_fp8_fp8 v[160:163], a[76:77], v[180:181], v[160:163]// 000000006BD0: D3F300A0 0E83694C
	v_mfma_f32_16x16x32_fp8_fp8 v[160:163], a[78:79], v[182:183], v[160:163]// 000000006BD8: D3F300A0 0E836D4E
	v_mfma_f32_16x16x32_fp8_fp8 v[164:167], a[64:65], v[184:185], v[164:167]// 000000006BE0: D3F300A4 0E937140
	buffer_load_dwordx4 a[152:155], v38, s[92:95], 0 offen offset:2048// 000000006BE8: E05C1800 80979826
	v_mfma_f32_16x16x32_fp8_fp8 v[164:167], a[66:67], v[186:187], v[164:167]// 000000006BF0: D3F300A4 0E937542
	v_mfma_f32_16x16x32_fp8_fp8 v[164:167], a[68:69], v[188:189], v[164:167]// 000000006BF8: D3F300A4 0E937944
	v_mfma_f32_16x16x32_fp8_fp8 v[164:167], a[70:71], v[190:191], v[164:167]// 000000006C00: D3F300A4 0E937D46
	v_mfma_f32_16x16x32_fp8_fp8 v[164:167], a[72:73], v[192:193], v[164:167]// 000000006C08: D3F300A4 0E938148
	buffer_load_dwordx4 a[156:159], v38, s[92:95], 0 offen offset:3072// 000000006C10: E05C1C00 80979C26
	v_mfma_f32_16x16x32_fp8_fp8 v[164:167], a[74:75], v[194:195], v[164:167]// 000000006C18: D3F300A4 0E93854A
	v_mfma_f32_16x16x32_fp8_fp8 v[164:167], a[76:77], v[196:197], v[164:167]// 000000006C20: D3F300A4 0E93894C
	v_mfma_f32_16x16x32_fp8_fp8 v[164:167], a[78:79], v[198:199], v[164:167]// 000000006C28: D3F300A4 0E938D4E
	s_waitcnt vmcnt(12)                                        // 000000006C30: BF8C0F7C
	s_barrier                                                  // 000000006C34: BF8A0000
	v_mfma_f32_16x16x32_fp8_fp8 v[64:67], a[80:81], v[168:169], v[64:67]// 000000006C38: D3F30040 0D035150
	buffer_load_dwordx4 a[0:3], v34, s[24:27], 0 offen         // 000000006C40: E05C1000 80860022
	v_mfma_f32_16x16x32_fp8_fp8 v[64:67], a[82:83], v[170:171], v[64:67]// 000000006C48: D3F30040 0D035552
	v_mfma_f32_16x16x32_fp8_fp8 v[64:67], a[84:85], v[172:173], v[64:67]// 000000006C50: D3F30040 0D035954
	v_mfma_f32_16x16x32_fp8_fp8 v[64:67], a[86:87], v[174:175], v[64:67]// 000000006C58: D3F30040 0D035D56
	v_mfma_f32_16x16x32_fp8_fp8 v[64:67], a[88:89], v[176:177], v[64:67]// 000000006C60: D3F30040 0D036158
	buffer_load_dwordx4 a[4:7], v34, s[24:27], 0 offen offset:1024// 000000006C68: E05C1400 80860422
	v_mfma_f32_16x16x32_fp8_fp8 v[64:67], a[90:91], v[178:179], v[64:67]// 000000006C70: D3F30040 0D03655A
	v_mfma_f32_16x16x32_fp8_fp8 v[64:67], a[92:93], v[180:181], v[64:67]// 000000006C78: D3F30040 0D03695C
	v_mfma_f32_16x16x32_fp8_fp8 v[64:67], a[94:95], v[182:183], v[64:67]// 000000006C80: D3F30040 0D036D5E
	v_mfma_f32_16x16x32_fp8_fp8 v[68:71], a[80:81], v[184:185], v[68:71]// 000000006C88: D3F30044 0D137150
	buffer_load_dwordx4 a[8:11], v34, s[24:27], 0 offen offset:2048// 000000006C90: E05C1800 80860822
	v_mfma_f32_16x16x32_fp8_fp8 v[68:71], a[82:83], v[186:187], v[68:71]// 000000006C98: D3F30044 0D137552
	v_mfma_f32_16x16x32_fp8_fp8 v[68:71], a[84:85], v[188:189], v[68:71]// 000000006CA0: D3F30044 0D137954
	v_mfma_f32_16x16x32_fp8_fp8 v[68:71], a[86:87], v[190:191], v[68:71]// 000000006CA8: D3F30044 0D137D56
	v_mfma_f32_16x16x32_fp8_fp8 v[68:71], a[88:89], v[192:193], v[68:71]// 000000006CB0: D3F30044 0D138158
	buffer_load_dwordx4 a[12:15], v34, s[24:27], 0 offen offset:3072// 000000006CB8: E05C1C00 80860C22
	v_mfma_f32_16x16x32_fp8_fp8 v[68:71], a[90:91], v[194:195], v[68:71]// 000000006CC0: D3F30044 0D13855A
	v_mfma_f32_16x16x32_fp8_fp8 v[68:71], a[92:93], v[196:197], v[68:71]// 000000006CC8: D3F30044 0D13895C
	v_mfma_f32_16x16x32_fp8_fp8 v[68:71], a[94:95], v[198:199], v[68:71]// 000000006CD0: D3F30044 0D138D5E
	v_mfma_f32_16x16x32_fp8_fp8 v[72:75], a[96:97], v[168:169], v[72:75]// 000000006CD8: D3F30048 0D235160
	buffer_load_dwordx4 a[16:19], v35, s[24:27], 0 offen       // 000000006CE0: E05C1000 80861023
	v_mfma_f32_16x16x32_fp8_fp8 v[72:75], a[98:99], v[170:171], v[72:75]// 000000006CE8: D3F30048 0D235562
	v_mfma_f32_16x16x32_fp8_fp8 v[72:75], a[100:101], v[172:173], v[72:75]// 000000006CF0: D3F30048 0D235964
	v_mfma_f32_16x16x32_fp8_fp8 v[72:75], a[102:103], v[174:175], v[72:75]// 000000006CF8: D3F30048 0D235D66
	v_mfma_f32_16x16x32_fp8_fp8 v[72:75], a[104:105], v[176:177], v[72:75]// 000000006D00: D3F30048 0D236168
	buffer_load_dwordx4 a[20:23], v35, s[24:27], 0 offen offset:1024// 000000006D08: E05C1400 80861423
	v_mfma_f32_16x16x32_fp8_fp8 v[72:75], a[106:107], v[178:179], v[72:75]// 000000006D10: D3F30048 0D23656A
	v_mfma_f32_16x16x32_fp8_fp8 v[72:75], a[108:109], v[180:181], v[72:75]// 000000006D18: D3F30048 0D23696C
	v_mfma_f32_16x16x32_fp8_fp8 v[72:75], a[110:111], v[182:183], v[72:75]// 000000006D20: D3F30048 0D236D6E
	v_mfma_f32_16x16x32_fp8_fp8 v[76:79], a[96:97], v[184:185], v[76:79]// 000000006D28: D3F3004C 0D337160
	buffer_load_dwordx4 a[24:27], v35, s[24:27], 0 offen offset:2048// 000000006D30: E05C1800 80861823
	v_mfma_f32_16x16x32_fp8_fp8 v[76:79], a[98:99], v[186:187], v[76:79]// 000000006D38: D3F3004C 0D337562
	v_mfma_f32_16x16x32_fp8_fp8 v[76:79], a[100:101], v[188:189], v[76:79]// 000000006D40: D3F3004C 0D337964
	v_mfma_f32_16x16x32_fp8_fp8 v[76:79], a[102:103], v[190:191], v[76:79]// 000000006D48: D3F3004C 0D337D66
	v_mfma_f32_16x16x32_fp8_fp8 v[76:79], a[104:105], v[192:193], v[76:79]// 000000006D50: D3F3004C 0D338168
	buffer_load_dwordx4 a[28:31], v35, s[24:27], 0 offen offset:3072// 000000006D58: E05C1C00 80861C23
	v_mfma_f32_16x16x32_fp8_fp8 v[76:79], a[106:107], v[194:195], v[76:79]// 000000006D60: D3F3004C 0D33856A
	v_mfma_f32_16x16x32_fp8_fp8 v[76:79], a[108:109], v[196:197], v[76:79]// 000000006D68: D3F3004C 0D33896C
	v_mfma_f32_16x16x32_fp8_fp8 v[76:79], a[110:111], v[198:199], v[76:79]// 000000006D70: D3F3004C 0D338D6E
	s_waitcnt vmcnt(16)                                        // 000000006D78: BF8C4F70
	v_mfma_f32_16x16x32_fp8_fp8 v[80:83], a[112:113], v[168:169], v[80:83]// 000000006D7C: D3F30050 0D435170
	buffer_load_dwordx4 a[32:35], v36, s[24:27], 0 offen       // 000000006D84: E05C1000 80862024
	v_mfma_f32_16x16x32_fp8_fp8 v[80:83], a[114:115], v[170:171], v[80:83]// 000000006D8C: D3F30050 0D435572
	v_mfma_f32_16x16x32_fp8_fp8 v[80:83], a[116:117], v[172:173], v[80:83]// 000000006D94: D3F30050 0D435974
	ds_read_b128 v[200:203], v2 offset:8320                    // 000000006D9C: D9FE2080 C8000002
	v_mfma_f32_16x16x32_fp8_fp8 v[80:83], a[118:119], v[174:175], v[80:83]// 000000006DA4: D3F30050 0D435D76
	v_mfma_f32_16x16x32_fp8_fp8 v[80:83], a[120:121], v[176:177], v[80:83]// 000000006DAC: D3F30050 0D436178
	buffer_load_dwordx4 a[36:39], v36, s[24:27], 0 offen offset:1024// 000000006DB4: E05C1400 80862424
	v_mfma_f32_16x16x32_fp8_fp8 v[80:83], a[122:123], v[178:179], v[80:83]// 000000006DBC: D3F30050 0D43657A
	v_mfma_f32_16x16x32_fp8_fp8 v[80:83], a[124:125], v[180:181], v[80:83]// 000000006DC4: D3F30050 0D43697C
	ds_read_b128 v[204:207], v2 offset:8384                    // 000000006DCC: D9FE20C0 CC000002
	v_mfma_f32_16x16x32_fp8_fp8 v[80:83], a[126:127], v[182:183], v[80:83]// 000000006DD4: D3F30050 0D436D7E
	v_mfma_f32_16x16x32_fp8_fp8 v[84:87], a[112:113], v[184:185], v[84:87]// 000000006DDC: D3F30054 0D537170
	buffer_load_dwordx4 a[40:43], v36, s[24:27], 0 offen offset:2048// 000000006DE4: E05C1800 80862824
	v_mfma_f32_16x16x32_fp8_fp8 v[84:87], a[114:115], v[186:187], v[84:87]// 000000006DEC: D3F30054 0D537572
	v_mfma_f32_16x16x32_fp8_fp8 v[84:87], a[116:117], v[188:189], v[84:87]// 000000006DF4: D3F30054 0D537974
	ds_read_b128 v[208:211], v2 offset:8448                    // 000000006DFC: D9FE2100 D0000002
	v_mfma_f32_16x16x32_fp8_fp8 v[84:87], a[118:119], v[190:191], v[84:87]// 000000006E04: D3F30054 0D537D76
	v_mfma_f32_16x16x32_fp8_fp8 v[84:87], a[120:121], v[192:193], v[84:87]// 000000006E0C: D3F30054 0D538178
	buffer_load_dwordx4 a[44:47], v36, s[24:27], 0 offen offset:3072// 000000006E14: E05C1C00 80862C24
	v_mfma_f32_16x16x32_fp8_fp8 v[84:87], a[122:123], v[194:195], v[84:87]// 000000006E1C: D3F30054 0D53857A
	v_mfma_f32_16x16x32_fp8_fp8 v[84:87], a[124:125], v[196:197], v[84:87]// 000000006E24: D3F30054 0D53897C
	ds_read_b128 v[212:215], v2 offset:8512                    // 000000006E2C: D9FE2140 D4000002
	v_mfma_f32_16x16x32_fp8_fp8 v[84:87], a[126:127], v[198:199], v[84:87]// 000000006E34: D3F30054 0D538D7E
	s_waitcnt vmcnt(16)                                        // 000000006E3C: BF8C4F70
	v_mfma_f32_16x16x32_fp8_fp8 v[88:91], a[128:129], v[168:169], v[88:91]// 000000006E40: D3F30058 0D635180
	buffer_load_dwordx4 a[48:51], v37, s[24:27], 0 offen       // 000000006E48: E05C1000 80863025
	v_mfma_f32_16x16x32_fp8_fp8 v[88:91], a[130:131], v[170:171], v[88:91]// 000000006E50: D3F30058 0D635582
	v_mfma_f32_16x16x32_fp8_fp8 v[88:91], a[132:133], v[172:173], v[88:91]// 000000006E58: D3F30058 0D635984
	ds_read_b128 v[216:219], v2 offset:9344                    // 000000006E60: D9FE2480 D8000002
	v_mfma_f32_16x16x32_fp8_fp8 v[88:91], a[134:135], v[174:175], v[88:91]// 000000006E68: D3F30058 0D635D86
	v_mfma_f32_16x16x32_fp8_fp8 v[88:91], a[136:137], v[176:177], v[88:91]// 000000006E70: D3F30058 0D636188
	buffer_load_dwordx4 a[52:55], v37, s[24:27], 0 offen offset:1024// 000000006E78: E05C1400 80863425
	v_mfma_f32_16x16x32_fp8_fp8 v[88:91], a[138:139], v[178:179], v[88:91]// 000000006E80: D3F30058 0D63658A
	v_mfma_f32_16x16x32_fp8_fp8 v[88:91], a[140:141], v[180:181], v[88:91]// 000000006E88: D3F30058 0D63698C
	ds_read_b128 v[220:223], v2 offset:9408                    // 000000006E90: D9FE24C0 DC000002
	v_mfma_f32_16x16x32_fp8_fp8 v[88:91], a[142:143], v[182:183], v[88:91]// 000000006E98: D3F30058 0D636D8E
	v_mfma_f32_16x16x32_fp8_fp8 v[92:95], a[128:129], v[184:185], v[92:95]// 000000006EA0: D3F3005C 0D737180
	buffer_load_dwordx4 a[56:59], v37, s[24:27], 0 offen offset:2048// 000000006EA8: E05C1800 80863825
	v_mfma_f32_16x16x32_fp8_fp8 v[92:95], a[130:131], v[186:187], v[92:95]// 000000006EB0: D3F3005C 0D737582
	v_mfma_f32_16x16x32_fp8_fp8 v[92:95], a[132:133], v[188:189], v[92:95]// 000000006EB8: D3F3005C 0D737984
	ds_read_b128 v[224:227], v2 offset:9472                    // 000000006EC0: D9FE2500 E0000002
	v_mfma_f32_16x16x32_fp8_fp8 v[92:95], a[134:135], v[190:191], v[92:95]// 000000006EC8: D3F3005C 0D737D86
	v_mfma_f32_16x16x32_fp8_fp8 v[92:95], a[136:137], v[192:193], v[92:95]// 000000006ED0: D3F3005C 0D738188
	buffer_load_dwordx4 a[60:63], v37, s[24:27], 0 offen offset:3072// 000000006ED8: E05C1C00 80863C25
	v_mfma_f32_16x16x32_fp8_fp8 v[92:95], a[138:139], v[194:195], v[92:95]// 000000006EE0: D3F3005C 0D73858A
	v_mfma_f32_16x16x32_fp8_fp8 v[92:95], a[140:141], v[196:197], v[92:95]// 000000006EE8: D3F3005C 0D73898C
	ds_read_b128 v[228:231], v2 offset:9536                    // 000000006EF0: D9FE2540 E4000002
	v_mfma_f32_16x16x32_fp8_fp8 v[92:95], a[142:143], v[198:199], v[92:95]// 000000006EF8: D3F3005C 0D738D8E
	s_waitcnt vmcnt(16)                                        // 000000006F00: BF8C4F70
	v_mfma_f32_16x16x32_fp8_fp8 v[96:99], a[144:145], v[168:169], v[96:99]// 000000006F04: D3F30060 0D835190
	buffer_load_dwordx4 a[64:67], v38, s[24:27], 0 offen       // 000000006F0C: E05C1000 80864026
	v_mfma_f32_16x16x32_fp8_fp8 v[96:99], a[146:147], v[170:171], v[96:99]// 000000006F14: D3F30060 0D835592
	v_mfma_f32_16x16x32_fp8_fp8 v[96:99], a[148:149], v[172:173], v[96:99]// 000000006F1C: D3F30060 0D835994
	v_mfma_f32_16x16x32_fp8_fp8 v[96:99], a[150:151], v[174:175], v[96:99]// 000000006F24: D3F30060 0D835D96
	v_mfma_f32_16x16x32_fp8_fp8 v[96:99], a[152:153], v[176:177], v[96:99]// 000000006F2C: D3F30060 0D836198
	buffer_load_dwordx4 a[68:71], v38, s[24:27], 0 offen offset:1024// 000000006F34: E05C1400 80864426
	v_mfma_f32_16x16x32_fp8_fp8 v[96:99], a[154:155], v[178:179], v[96:99]// 000000006F3C: D3F30060 0D83659A
	v_mfma_f32_16x16x32_fp8_fp8 v[96:99], a[156:157], v[180:181], v[96:99]// 000000006F44: D3F30060 0D83699C
	v_mfma_f32_16x16x32_fp8_fp8 v[96:99], a[158:159], v[182:183], v[96:99]// 000000006F4C: D3F30060 0D836D9E
	v_mfma_f32_16x16x32_fp8_fp8 v[100:103], a[144:145], v[184:185], v[100:103]// 000000006F54: D3F30064 0D937190
	buffer_load_dwordx4 a[72:75], v38, s[24:27], 0 offen offset:2048// 000000006F5C: E05C1800 80864826
	v_mfma_f32_16x16x32_fp8_fp8 v[100:103], a[146:147], v[186:187], v[100:103]// 000000006F64: D3F30064 0D937592
	v_mfma_f32_16x16x32_fp8_fp8 v[100:103], a[148:149], v[188:189], v[100:103]// 000000006F6C: D3F30064 0D937994
	v_mfma_f32_16x16x32_fp8_fp8 v[100:103], a[150:151], v[190:191], v[100:103]// 000000006F74: D3F30064 0D937D96
	v_mfma_f32_16x16x32_fp8_fp8 v[100:103], a[152:153], v[192:193], v[100:103]// 000000006F7C: D3F30064 0D938198
	buffer_load_dwordx4 a[76:79], v38, s[24:27], 0 offen offset:3072// 000000006F84: E05C1C00 80864C26
	v_mfma_f32_16x16x32_fp8_fp8 v[100:103], a[154:155], v[194:195], v[100:103]// 000000006F8C: D3F30064 0D93859A
	v_mfma_f32_16x16x32_fp8_fp8 v[100:103], a[156:157], v[196:197], v[100:103]// 000000006F94: D3F30064 0D93899C
	v_mfma_f32_16x16x32_fp8_fp8 v[100:103], a[158:159], v[198:199], v[100:103]// 000000006F9C: D3F30064 0D938D9E
	s_add_u32 s60, 0x200, s80                                  // 000000006FA4: 803C50FF 00000200
	s_cmp_lt_u32 s60, s81                                      // 000000006FAC: BF0A513C
	s_cselect_b32 s57, s57, 0                                  // 000000006FB0: 85398039
	s_add_u32 s60, 0x200, s80                                  // 000000006FB4: 803C50FF 00000200
	s_cmp_lt_u32 s60, s81                                      // 000000006FBC: BF0A513C
	s_cselect_b32 s58, s58, 0                                  // 000000006FC0: 853A803A
	s_add_u32 s20, s57, s20                                    // 000000006FC4: 80141439
	s_addc_u32 s21, 0, s21                                     // 000000006FC8: 82151580
	s_add_u32 s24, s58, s24                                    // 000000006FCC: 8018183A
	s_addc_u32 s25, 0, s25                                     // 000000006FD0: 82191980
	s_add_u32 s92, s90, s92                                    // 000000006FD4: 805C5C5A
	s_addc_u32 s93, 0, s93                                     // 000000006FD8: 825D5D80
	s_addk_i32 s80, 0x100                                      // 000000006FDC: B7500100
	s_cmp_lt_i32 s80, s81                                      // 000000006FE0: BF045150
	s_cbranch_scc0 label_1255                                  // 000000006FE4: BF8401DB
	s_waitcnt vmcnt(12) lgkmcnt(0)                             // 000000006FE8: BF8C007C
	s_barrier                                                  // 000000006FEC: BF8A0000
	v_mfma_f32_16x16x32_fp8_fp8 v[128:131], a[0:1], v[200:201], v[128:131]// 000000006FF0: D3F30080 0E039100
	buffer_load_dwordx4 a[80:83], v34, s[92:95], 0 offen       // 000000006FF8: E05C1000 80975022
	v_mfma_f32_16x16x32_fp8_fp8 v[128:131], a[2:3], v[202:203], v[128:131]// 000000007000: D3F30080 0E039502
	v_mfma_f32_16x16x32_fp8_fp8 v[128:131], a[4:5], v[204:205], v[128:131]// 000000007008: D3F30080 0E039904
	buffer_load_dword v26, s[20:23], 0 offen lds               // 000000007010: E0511000 8005001A
	s_add_u32 m0, 0x100, s50                                   // 000000007018: 807C32FF 00000100
	v_mfma_f32_16x16x32_fp8_fp8 v[128:131], a[6:7], v[206:207], v[128:131]// 000000007020: D3F30080 0E039D06
	v_mfma_f32_16x16x32_fp8_fp8 v[128:131], a[8:9], v[208:209], v[128:131]// 000000007028: D3F30080 0E03A108
	buffer_load_dwordx4 a[84:87], v34, s[92:95], 0 offen offset:1024// 000000007030: E05C1400 80975422
	v_mfma_f32_16x16x32_fp8_fp8 v[128:131], a[10:11], v[210:211], v[128:131]// 000000007038: D3F30080 0E03A50A
	v_mfma_f32_16x16x32_fp8_fp8 v[128:131], a[12:13], v[212:213], v[128:131]// 000000007040: D3F30080 0E03A90C
	buffer_load_dword v27, s[20:23], 0 offen lds               // 000000007048: E0511000 8005001B
	s_add_u32 m0, 0x200, s50                                   // 000000007050: 807C32FF 00000200
	v_mfma_f32_16x16x32_fp8_fp8 v[128:131], a[14:15], v[214:215], v[128:131]// 000000007058: D3F30080 0E03AD0E
	v_mfma_f32_16x16x32_fp8_fp8 v[132:135], a[0:1], v[216:217], v[132:135]// 000000007060: D3F30084 0E13B100
	buffer_load_dwordx4 a[88:91], v34, s[92:95], 0 offen offset:2048// 000000007068: E05C1800 80975822
	v_mfma_f32_16x16x32_fp8_fp8 v[132:135], a[2:3], v[218:219], v[132:135]// 000000007070: D3F30084 0E13B502
	v_mfma_f32_16x16x32_fp8_fp8 v[132:135], a[4:5], v[220:221], v[132:135]// 000000007078: D3F30084 0E13B904
	buffer_load_dword v28, s[20:23], 0 offen lds               // 000000007080: E0511000 8005001C
	s_add_u32 m0, 0x300, s50                                   // 000000007088: 807C32FF 00000300
	v_mfma_f32_16x16x32_fp8_fp8 v[132:135], a[6:7], v[222:223], v[132:135]// 000000007090: D3F30084 0E13BD06
	v_mfma_f32_16x16x32_fp8_fp8 v[132:135], a[8:9], v[224:225], v[132:135]// 000000007098: D3F30084 0E13C108
	buffer_load_dwordx4 a[92:95], v34, s[92:95], 0 offen offset:3072// 0000000070A0: E05C1C00 80975C22
	v_mfma_f32_16x16x32_fp8_fp8 v[132:135], a[10:11], v[226:227], v[132:135]// 0000000070A8: D3F30084 0E13C50A
	v_mfma_f32_16x16x32_fp8_fp8 v[132:135], a[12:13], v[228:229], v[132:135]// 0000000070B0: D3F30084 0E13C90C
	buffer_load_dword v29, s[20:23], 0 offen lds               // 0000000070B8: E0511000 8005001D
	s_add_u32 m0, 0x400, s50                                   // 0000000070C0: 807C32FF 00000400
	v_mfma_f32_16x16x32_fp8_fp8 v[132:135], a[14:15], v[230:231], v[132:135]// 0000000070C8: D3F30084 0E13CD0E
	v_mfma_f32_16x16x32_fp8_fp8 v[136:139], a[16:17], v[200:201], v[136:139]// 0000000070D0: D3F30088 0E239110
	buffer_load_dwordx4 a[96:99], v35, s[92:95], 0 offen       // 0000000070D8: E05C1000 80976023
	v_mfma_f32_16x16x32_fp8_fp8 v[136:139], a[18:19], v[202:203], v[136:139]// 0000000070E0: D3F30088 0E239512
	v_mfma_f32_16x16x32_fp8_fp8 v[136:139], a[20:21], v[204:205], v[136:139]// 0000000070E8: D3F30088 0E239914
	buffer_load_dword v30, s[20:23], 0 offen lds               // 0000000070F0: E0511000 8005001E
	s_add_u32 m0, 0x500, s50                                   // 0000000070F8: 807C32FF 00000500
	v_mfma_f32_16x16x32_fp8_fp8 v[136:139], a[22:23], v[206:207], v[136:139]// 000000007100: D3F30088 0E239D16
	v_mfma_f32_16x16x32_fp8_fp8 v[136:139], a[24:25], v[208:209], v[136:139]// 000000007108: D3F30088 0E23A118
	buffer_load_dwordx4 a[100:103], v35, s[92:95], 0 offen offset:1024// 000000007110: E05C1400 80976423
	v_mfma_f32_16x16x32_fp8_fp8 v[136:139], a[26:27], v[210:211], v[136:139]// 000000007118: D3F30088 0E23A51A
	v_mfma_f32_16x16x32_fp8_fp8 v[136:139], a[28:29], v[212:213], v[136:139]// 000000007120: D3F30088 0E23A91C
	buffer_load_dword v31, s[20:23], 0 offen lds               // 000000007128: E0511000 8005001F
	s_add_u32 m0, 0x600, s50                                   // 000000007130: 807C32FF 00000600
	v_mfma_f32_16x16x32_fp8_fp8 v[136:139], a[30:31], v[214:215], v[136:139]// 000000007138: D3F30088 0E23AD1E
	v_mfma_f32_16x16x32_fp8_fp8 v[140:143], a[16:17], v[216:217], v[140:143]// 000000007140: D3F3008C 0E33B110
	buffer_load_dwordx4 a[104:107], v35, s[92:95], 0 offen offset:2048// 000000007148: E05C1800 80976823
	v_mfma_f32_16x16x32_fp8_fp8 v[140:143], a[18:19], v[218:219], v[140:143]// 000000007150: D3F3008C 0E33B512
	v_mfma_f32_16x16x32_fp8_fp8 v[140:143], a[20:21], v[220:221], v[140:143]// 000000007158: D3F3008C 0E33B914
	buffer_load_dword v32, s[20:23], 0 offen lds               // 000000007160: E0511000 80050020
	s_add_u32 m0, 0x700, s50                                   // 000000007168: 807C32FF 00000700
	v_mfma_f32_16x16x32_fp8_fp8 v[140:143], a[22:23], v[222:223], v[140:143]// 000000007170: D3F3008C 0E33BD16
	v_mfma_f32_16x16x32_fp8_fp8 v[140:143], a[24:25], v[224:225], v[140:143]// 000000007178: D3F3008C 0E33C118
	buffer_load_dwordx4 a[108:111], v35, s[92:95], 0 offen offset:3072// 000000007180: E05C1C00 80976C23
	v_mfma_f32_16x16x32_fp8_fp8 v[140:143], a[26:27], v[226:227], v[140:143]// 000000007188: D3F3008C 0E33C51A
	v_mfma_f32_16x16x32_fp8_fp8 v[140:143], a[28:29], v[228:229], v[140:143]// 000000007190: D3F3008C 0E33C91C
	buffer_load_dword v33, s[20:23], 0 offen lds               // 000000007198: E0511000 80050021
	s_add_u32 m0, 0, s51                                       // 0000000071A0: 807C3380
	v_mfma_f32_16x16x32_fp8_fp8 v[140:143], a[30:31], v[230:231], v[140:143]// 0000000071A4: D3F3008C 0E33CD1E
	s_waitcnt vmcnt(24)                                        // 0000000071AC: BF8C4F78
	v_mfma_f32_16x16x32_fp8_fp8 v[144:147], a[32:33], v[200:201], v[144:147]// 0000000071B0: D3F30090 0E439120
	buffer_load_dwordx4 a[112:115], v36, s[92:95], 0 offen     // 0000000071B8: E05C1000 80977024
	v_mfma_f32_16x16x32_fp8_fp8 v[144:147], a[34:35], v[202:203], v[144:147]// 0000000071C0: D3F30090 0E439522
	v_mfma_f32_16x16x32_fp8_fp8 v[144:147], a[36:37], v[204:205], v[144:147]// 0000000071C8: D3F30090 0E439924
	v_mfma_f32_16x16x32_fp8_fp8 v[144:147], a[38:39], v[206:207], v[144:147]// 0000000071D0: D3F30090 0E439D26
	v_mfma_f32_16x16x32_fp8_fp8 v[144:147], a[40:41], v[208:209], v[144:147]// 0000000071D8: D3F30090 0E43A128
	buffer_load_dwordx4 a[116:119], v36, s[92:95], 0 offen offset:1024// 0000000071E0: E05C1400 80977424
	v_mfma_f32_16x16x32_fp8_fp8 v[144:147], a[42:43], v[210:211], v[144:147]// 0000000071E8: D3F30090 0E43A52A
	v_mfma_f32_16x16x32_fp8_fp8 v[144:147], a[44:45], v[212:213], v[144:147]// 0000000071F0: D3F30090 0E43A92C
	v_mfma_f32_16x16x32_fp8_fp8 v[144:147], a[46:47], v[214:215], v[144:147]// 0000000071F8: D3F30090 0E43AD2E
	v_mfma_f32_16x16x32_fp8_fp8 v[148:151], a[32:33], v[216:217], v[148:151]// 000000007200: D3F30094 0E53B120
	buffer_load_dwordx4 a[120:123], v36, s[92:95], 0 offen offset:2048// 000000007208: E05C1800 80977824
	v_mfma_f32_16x16x32_fp8_fp8 v[148:151], a[34:35], v[218:219], v[148:151]// 000000007210: D3F30094 0E53B522
	v_mfma_f32_16x16x32_fp8_fp8 v[148:151], a[36:37], v[220:221], v[148:151]// 000000007218: D3F30094 0E53B924
	v_mfma_f32_16x16x32_fp8_fp8 v[148:151], a[38:39], v[222:223], v[148:151]// 000000007220: D3F30094 0E53BD26
	v_mfma_f32_16x16x32_fp8_fp8 v[148:151], a[40:41], v[224:225], v[148:151]// 000000007228: D3F30094 0E53C128
	buffer_load_dwordx4 a[124:127], v36, s[92:95], 0 offen offset:3072// 000000007230: E05C1C00 80977C24
	v_mfma_f32_16x16x32_fp8_fp8 v[148:151], a[42:43], v[226:227], v[148:151]// 000000007238: D3F30094 0E53C52A
	v_mfma_f32_16x16x32_fp8_fp8 v[148:151], a[44:45], v[228:229], v[148:151]// 000000007240: D3F30094 0E53C92C
	v_mfma_f32_16x16x32_fp8_fp8 v[148:151], a[46:47], v[230:231], v[148:151]// 000000007248: D3F30094 0E53CD2E
	s_waitcnt vmcnt(24)                                        // 000000007250: BF8C4F78
	v_mfma_f32_16x16x32_fp8_fp8 v[152:155], a[48:49], v[200:201], v[152:155]// 000000007254: D3F30098 0E639130
	buffer_load_dwordx4 a[128:131], v37, s[92:95], 0 offen     // 00000000725C: E05C1000 80978025
	v_mfma_f32_16x16x32_fp8_fp8 v[152:155], a[50:51], v[202:203], v[152:155]// 000000007264: D3F30098 0E639532
	v_mfma_f32_16x16x32_fp8_fp8 v[152:155], a[52:53], v[204:205], v[152:155]// 00000000726C: D3F30098 0E639934
	v_mfma_f32_16x16x32_fp8_fp8 v[152:155], a[54:55], v[206:207], v[152:155]// 000000007274: D3F30098 0E639D36
	v_mfma_f32_16x16x32_fp8_fp8 v[152:155], a[56:57], v[208:209], v[152:155]// 00000000727C: D3F30098 0E63A138
	buffer_load_dwordx4 a[132:135], v37, s[92:95], 0 offen offset:1024// 000000007284: E05C1400 80978425
	v_mfma_f32_16x16x32_fp8_fp8 v[152:155], a[58:59], v[210:211], v[152:155]// 00000000728C: D3F30098 0E63A53A
	v_mfma_f32_16x16x32_fp8_fp8 v[152:155], a[60:61], v[212:213], v[152:155]// 000000007294: D3F30098 0E63A93C
	v_mfma_f32_16x16x32_fp8_fp8 v[152:155], a[62:63], v[214:215], v[152:155]// 00000000729C: D3F30098 0E63AD3E
	v_mfma_f32_16x16x32_fp8_fp8 v[156:159], a[48:49], v[216:217], v[156:159]// 0000000072A4: D3F3009C 0E73B130
	buffer_load_dwordx4 a[136:139], v37, s[92:95], 0 offen offset:2048// 0000000072AC: E05C1800 80978825
	v_mfma_f32_16x16x32_fp8_fp8 v[156:159], a[50:51], v[218:219], v[156:159]// 0000000072B4: D3F3009C 0E73B532
	v_mfma_f32_16x16x32_fp8_fp8 v[156:159], a[52:53], v[220:221], v[156:159]// 0000000072BC: D3F3009C 0E73B934
	v_mfma_f32_16x16x32_fp8_fp8 v[156:159], a[54:55], v[222:223], v[156:159]// 0000000072C4: D3F3009C 0E73BD36
	v_mfma_f32_16x16x32_fp8_fp8 v[156:159], a[56:57], v[224:225], v[156:159]// 0000000072CC: D3F3009C 0E73C138
	buffer_load_dwordx4 a[140:143], v37, s[92:95], 0 offen offset:3072// 0000000072D4: E05C1C00 80978C25
	v_mfma_f32_16x16x32_fp8_fp8 v[156:159], a[58:59], v[226:227], v[156:159]// 0000000072DC: D3F3009C 0E73C53A
	v_mfma_f32_16x16x32_fp8_fp8 v[156:159], a[60:61], v[228:229], v[156:159]// 0000000072E4: D3F3009C 0E73C93C
	v_mfma_f32_16x16x32_fp8_fp8 v[156:159], a[62:63], v[230:231], v[156:159]// 0000000072EC: D3F3009C 0E73CD3E
	s_waitcnt vmcnt(24)                                        // 0000000072F4: BF8C4F78
	v_mfma_f32_16x16x32_fp8_fp8 v[160:163], a[64:65], v[200:201], v[160:163]// 0000000072F8: D3F300A0 0E839140
	buffer_load_dwordx4 a[144:147], v38, s[92:95], 0 offen     // 000000007300: E05C1000 80979026
	v_mfma_f32_16x16x32_fp8_fp8 v[160:163], a[66:67], v[202:203], v[160:163]// 000000007308: D3F300A0 0E839542
	v_mfma_f32_16x16x32_fp8_fp8 v[160:163], a[68:69], v[204:205], v[160:163]// 000000007310: D3F300A0 0E839944
	v_mfma_f32_16x16x32_fp8_fp8 v[160:163], a[70:71], v[206:207], v[160:163]// 000000007318: D3F300A0 0E839D46
	v_mfma_f32_16x16x32_fp8_fp8 v[160:163], a[72:73], v[208:209], v[160:163]// 000000007320: D3F300A0 0E83A148
	buffer_load_dwordx4 a[148:151], v38, s[92:95], 0 offen offset:1024// 000000007328: E05C1400 80979426
	v_mfma_f32_16x16x32_fp8_fp8 v[160:163], a[74:75], v[210:211], v[160:163]// 000000007330: D3F300A0 0E83A54A
	v_mfma_f32_16x16x32_fp8_fp8 v[160:163], a[76:77], v[212:213], v[160:163]// 000000007338: D3F300A0 0E83A94C
	v_mfma_f32_16x16x32_fp8_fp8 v[160:163], a[78:79], v[214:215], v[160:163]// 000000007340: D3F300A0 0E83AD4E
	v_mfma_f32_16x16x32_fp8_fp8 v[164:167], a[64:65], v[216:217], v[164:167]// 000000007348: D3F300A4 0E93B140
	buffer_load_dwordx4 a[152:155], v38, s[92:95], 0 offen offset:2048// 000000007350: E05C1800 80979826
	v_mfma_f32_16x16x32_fp8_fp8 v[164:167], a[66:67], v[218:219], v[164:167]// 000000007358: D3F300A4 0E93B542
	v_mfma_f32_16x16x32_fp8_fp8 v[164:167], a[68:69], v[220:221], v[164:167]// 000000007360: D3F300A4 0E93B944
	v_mfma_f32_16x16x32_fp8_fp8 v[164:167], a[70:71], v[222:223], v[164:167]// 000000007368: D3F300A4 0E93BD46
	v_mfma_f32_16x16x32_fp8_fp8 v[164:167], a[72:73], v[224:225], v[164:167]// 000000007370: D3F300A4 0E93C148
	buffer_load_dwordx4 a[156:159], v38, s[92:95], 0 offen offset:3072// 000000007378: E05C1C00 80979C26
	v_mfma_f32_16x16x32_fp8_fp8 v[164:167], a[74:75], v[226:227], v[164:167]// 000000007380: D3F300A4 0E93C54A
	v_mfma_f32_16x16x32_fp8_fp8 v[164:167], a[76:77], v[228:229], v[164:167]// 000000007388: D3F300A4 0E93C94C
	v_mfma_f32_16x16x32_fp8_fp8 v[164:167], a[78:79], v[230:231], v[164:167]// 000000007390: D3F300A4 0E93CD4E
	s_waitcnt vmcnt(12)                                        // 000000007398: BF8C0F7C
	s_barrier                                                  // 00000000739C: BF8A0000
	v_mfma_f32_16x16x32_fp8_fp8 v[64:67], a[80:81], v[200:201], v[64:67]// 0000000073A0: D3F30040 0D039150
	buffer_load_dwordx4 a[0:3], v34, s[24:27], 0 offen         // 0000000073A8: E05C1000 80860022
	v_mfma_f32_16x16x32_fp8_fp8 v[64:67], a[82:83], v[202:203], v[64:67]// 0000000073B0: D3F30040 0D039552
	v_mfma_f32_16x16x32_fp8_fp8 v[64:67], a[84:85], v[204:205], v[64:67]// 0000000073B8: D3F30040 0D039954
	v_mfma_f32_16x16x32_fp8_fp8 v[64:67], a[86:87], v[206:207], v[64:67]// 0000000073C0: D3F30040 0D039D56
	v_mfma_f32_16x16x32_fp8_fp8 v[64:67], a[88:89], v[208:209], v[64:67]// 0000000073C8: D3F30040 0D03A158
	buffer_load_dwordx4 a[4:7], v34, s[24:27], 0 offen offset:1024// 0000000073D0: E05C1400 80860422
	v_mfma_f32_16x16x32_fp8_fp8 v[64:67], a[90:91], v[210:211], v[64:67]// 0000000073D8: D3F30040 0D03A55A
	v_mfma_f32_16x16x32_fp8_fp8 v[64:67], a[92:93], v[212:213], v[64:67]// 0000000073E0: D3F30040 0D03A95C
	v_mfma_f32_16x16x32_fp8_fp8 v[64:67], a[94:95], v[214:215], v[64:67]// 0000000073E8: D3F30040 0D03AD5E
	v_mfma_f32_16x16x32_fp8_fp8 v[68:71], a[80:81], v[216:217], v[68:71]// 0000000073F0: D3F30044 0D13B150
	buffer_load_dwordx4 a[8:11], v34, s[24:27], 0 offen offset:2048// 0000000073F8: E05C1800 80860822
	v_mfma_f32_16x16x32_fp8_fp8 v[68:71], a[82:83], v[218:219], v[68:71]// 000000007400: D3F30044 0D13B552
	v_mfma_f32_16x16x32_fp8_fp8 v[68:71], a[84:85], v[220:221], v[68:71]// 000000007408: D3F30044 0D13B954
	v_mfma_f32_16x16x32_fp8_fp8 v[68:71], a[86:87], v[222:223], v[68:71]// 000000007410: D3F30044 0D13BD56
	v_mfma_f32_16x16x32_fp8_fp8 v[68:71], a[88:89], v[224:225], v[68:71]// 000000007418: D3F30044 0D13C158
	buffer_load_dwordx4 a[12:15], v34, s[24:27], 0 offen offset:3072// 000000007420: E05C1C00 80860C22
	v_mfma_f32_16x16x32_fp8_fp8 v[68:71], a[90:91], v[226:227], v[68:71]// 000000007428: D3F30044 0D13C55A
	v_mfma_f32_16x16x32_fp8_fp8 v[68:71], a[92:93], v[228:229], v[68:71]// 000000007430: D3F30044 0D13C95C
	v_mfma_f32_16x16x32_fp8_fp8 v[68:71], a[94:95], v[230:231], v[68:71]// 000000007438: D3F30044 0D13CD5E
	v_mfma_f32_16x16x32_fp8_fp8 v[72:75], a[96:97], v[200:201], v[72:75]// 000000007440: D3F30048 0D239160
	buffer_load_dwordx4 a[16:19], v35, s[24:27], 0 offen       // 000000007448: E05C1000 80861023
	v_mfma_f32_16x16x32_fp8_fp8 v[72:75], a[98:99], v[202:203], v[72:75]// 000000007450: D3F30048 0D239562
	v_mfma_f32_16x16x32_fp8_fp8 v[72:75], a[100:101], v[204:205], v[72:75]// 000000007458: D3F30048 0D239964
	v_mfma_f32_16x16x32_fp8_fp8 v[72:75], a[102:103], v[206:207], v[72:75]// 000000007460: D3F30048 0D239D66
	v_mfma_f32_16x16x32_fp8_fp8 v[72:75], a[104:105], v[208:209], v[72:75]// 000000007468: D3F30048 0D23A168
	buffer_load_dwordx4 a[20:23], v35, s[24:27], 0 offen offset:1024// 000000007470: E05C1400 80861423
	v_mfma_f32_16x16x32_fp8_fp8 v[72:75], a[106:107], v[210:211], v[72:75]// 000000007478: D3F30048 0D23A56A
	v_mfma_f32_16x16x32_fp8_fp8 v[72:75], a[108:109], v[212:213], v[72:75]// 000000007480: D3F30048 0D23A96C
	v_mfma_f32_16x16x32_fp8_fp8 v[72:75], a[110:111], v[214:215], v[72:75]// 000000007488: D3F30048 0D23AD6E
	v_mfma_f32_16x16x32_fp8_fp8 v[76:79], a[96:97], v[216:217], v[76:79]// 000000007490: D3F3004C 0D33B160
	buffer_load_dwordx4 a[24:27], v35, s[24:27], 0 offen offset:2048// 000000007498: E05C1800 80861823
	v_mfma_f32_16x16x32_fp8_fp8 v[76:79], a[98:99], v[218:219], v[76:79]// 0000000074A0: D3F3004C 0D33B562
	v_mfma_f32_16x16x32_fp8_fp8 v[76:79], a[100:101], v[220:221], v[76:79]// 0000000074A8: D3F3004C 0D33B964
	v_mfma_f32_16x16x32_fp8_fp8 v[76:79], a[102:103], v[222:223], v[76:79]// 0000000074B0: D3F3004C 0D33BD66
	v_mfma_f32_16x16x32_fp8_fp8 v[76:79], a[104:105], v[224:225], v[76:79]// 0000000074B8: D3F3004C 0D33C168
	buffer_load_dwordx4 a[28:31], v35, s[24:27], 0 offen offset:3072// 0000000074C0: E05C1C00 80861C23
	v_mfma_f32_16x16x32_fp8_fp8 v[76:79], a[106:107], v[226:227], v[76:79]// 0000000074C8: D3F3004C 0D33C56A
	v_mfma_f32_16x16x32_fp8_fp8 v[76:79], a[108:109], v[228:229], v[76:79]// 0000000074D0: D3F3004C 0D33C96C
	v_mfma_f32_16x16x32_fp8_fp8 v[76:79], a[110:111], v[230:231], v[76:79]// 0000000074D8: D3F3004C 0D33CD6E
	s_waitcnt vmcnt(16)                                        // 0000000074E0: BF8C4F70
	v_mfma_f32_16x16x32_fp8_fp8 v[80:83], a[112:113], v[200:201], v[80:83]// 0000000074E4: D3F30050 0D439170
	buffer_load_dwordx4 a[32:35], v36, s[24:27], 0 offen       // 0000000074EC: E05C1000 80862024
	v_mfma_f32_16x16x32_fp8_fp8 v[80:83], a[114:115], v[202:203], v[80:83]// 0000000074F4: D3F30050 0D439572
	v_mfma_f32_16x16x32_fp8_fp8 v[80:83], a[116:117], v[204:205], v[80:83]// 0000000074FC: D3F30050 0D439974
	ds_read_b128 v[168:171], v2                                // 000000007504: D9FE0000 A8000002
	v_mfma_f32_16x16x32_fp8_fp8 v[80:83], a[118:119], v[206:207], v[80:83]// 00000000750C: D3F30050 0D439D76
	v_mfma_f32_16x16x32_fp8_fp8 v[80:83], a[120:121], v[208:209], v[80:83]// 000000007514: D3F30050 0D43A178
	buffer_load_dwordx4 a[36:39], v36, s[24:27], 0 offen offset:1024// 00000000751C: E05C1400 80862424
	v_mfma_f32_16x16x32_fp8_fp8 v[80:83], a[122:123], v[210:211], v[80:83]// 000000007524: D3F30050 0D43A57A
	v_mfma_f32_16x16x32_fp8_fp8 v[80:83], a[124:125], v[212:213], v[80:83]// 00000000752C: D3F30050 0D43A97C
	ds_read_b128 v[172:175], v2 offset:64                      // 000000007534: D9FE0040 AC000002
	v_mfma_f32_16x16x32_fp8_fp8 v[80:83], a[126:127], v[214:215], v[80:83]// 00000000753C: D3F30050 0D43AD7E
	v_mfma_f32_16x16x32_fp8_fp8 v[84:87], a[112:113], v[216:217], v[84:87]// 000000007544: D3F30054 0D53B170
	buffer_load_dwordx4 a[40:43], v36, s[24:27], 0 offen offset:2048// 00000000754C: E05C1800 80862824
	v_mfma_f32_16x16x32_fp8_fp8 v[84:87], a[114:115], v[218:219], v[84:87]// 000000007554: D3F30054 0D53B572
	v_mfma_f32_16x16x32_fp8_fp8 v[84:87], a[116:117], v[220:221], v[84:87]// 00000000755C: D3F30054 0D53B974
	ds_read_b128 v[176:179], v2 offset:128                     // 000000007564: D9FE0080 B0000002
	v_mfma_f32_16x16x32_fp8_fp8 v[84:87], a[118:119], v[222:223], v[84:87]// 00000000756C: D3F30054 0D53BD76
	v_mfma_f32_16x16x32_fp8_fp8 v[84:87], a[120:121], v[224:225], v[84:87]// 000000007574: D3F30054 0D53C178
	buffer_load_dwordx4 a[44:47], v36, s[24:27], 0 offen offset:3072// 00000000757C: E05C1C00 80862C24
	v_mfma_f32_16x16x32_fp8_fp8 v[84:87], a[122:123], v[226:227], v[84:87]// 000000007584: D3F30054 0D53C57A
	v_mfma_f32_16x16x32_fp8_fp8 v[84:87], a[124:125], v[228:229], v[84:87]// 00000000758C: D3F30054 0D53C97C
	ds_read_b128 v[180:183], v2 offset:192                     // 000000007594: D9FE00C0 B4000002
	v_mfma_f32_16x16x32_fp8_fp8 v[84:87], a[126:127], v[230:231], v[84:87]// 00000000759C: D3F30054 0D53CD7E
	s_waitcnt vmcnt(16)                                        // 0000000075A4: BF8C4F70
	v_mfma_f32_16x16x32_fp8_fp8 v[88:91], a[128:129], v[200:201], v[88:91]// 0000000075A8: D3F30058 0D639180
	buffer_load_dwordx4 a[48:51], v37, s[24:27], 0 offen       // 0000000075B0: E05C1000 80863025
	v_mfma_f32_16x16x32_fp8_fp8 v[88:91], a[130:131], v[202:203], v[88:91]// 0000000075B8: D3F30058 0D639582
	v_mfma_f32_16x16x32_fp8_fp8 v[88:91], a[132:133], v[204:205], v[88:91]// 0000000075C0: D3F30058 0D639984
	ds_read_b128 v[184:187], v2 offset:1024                    // 0000000075C8: D9FE0400 B8000002
	v_mfma_f32_16x16x32_fp8_fp8 v[88:91], a[134:135], v[206:207], v[88:91]// 0000000075D0: D3F30058 0D639D86
	v_mfma_f32_16x16x32_fp8_fp8 v[88:91], a[136:137], v[208:209], v[88:91]// 0000000075D8: D3F30058 0D63A188
	buffer_load_dwordx4 a[52:55], v37, s[24:27], 0 offen offset:1024// 0000000075E0: E05C1400 80863425
	v_mfma_f32_16x16x32_fp8_fp8 v[88:91], a[138:139], v[210:211], v[88:91]// 0000000075E8: D3F30058 0D63A58A
	v_mfma_f32_16x16x32_fp8_fp8 v[88:91], a[140:141], v[212:213], v[88:91]// 0000000075F0: D3F30058 0D63A98C
	ds_read_b128 v[188:191], v2 offset:1088                    // 0000000075F8: D9FE0440 BC000002
	v_mfma_f32_16x16x32_fp8_fp8 v[88:91], a[142:143], v[214:215], v[88:91]// 000000007600: D3F30058 0D63AD8E
	v_mfma_f32_16x16x32_fp8_fp8 v[92:95], a[128:129], v[216:217], v[92:95]// 000000007608: D3F3005C 0D73B180
	buffer_load_dwordx4 a[56:59], v37, s[24:27], 0 offen offset:2048// 000000007610: E05C1800 80863825
	v_mfma_f32_16x16x32_fp8_fp8 v[92:95], a[130:131], v[218:219], v[92:95]// 000000007618: D3F3005C 0D73B582
	v_mfma_f32_16x16x32_fp8_fp8 v[92:95], a[132:133], v[220:221], v[92:95]// 000000007620: D3F3005C 0D73B984
	ds_read_b128 v[192:195], v2 offset:1152                    // 000000007628: D9FE0480 C0000002
	v_mfma_f32_16x16x32_fp8_fp8 v[92:95], a[134:135], v[222:223], v[92:95]// 000000007630: D3F3005C 0D73BD86
	v_mfma_f32_16x16x32_fp8_fp8 v[92:95], a[136:137], v[224:225], v[92:95]// 000000007638: D3F3005C 0D73C188
	buffer_load_dwordx4 a[60:63], v37, s[24:27], 0 offen offset:3072// 000000007640: E05C1C00 80863C25
	v_mfma_f32_16x16x32_fp8_fp8 v[92:95], a[138:139], v[226:227], v[92:95]// 000000007648: D3F3005C 0D73C58A
	v_mfma_f32_16x16x32_fp8_fp8 v[92:95], a[140:141], v[228:229], v[92:95]// 000000007650: D3F3005C 0D73C98C
	ds_read_b128 v[196:199], v2 offset:1216                    // 000000007658: D9FE04C0 C4000002
	v_mfma_f32_16x16x32_fp8_fp8 v[92:95], a[142:143], v[230:231], v[92:95]// 000000007660: D3F3005C 0D73CD8E
	s_waitcnt vmcnt(16)                                        // 000000007668: BF8C4F70
	v_mfma_f32_16x16x32_fp8_fp8 v[96:99], a[144:145], v[200:201], v[96:99]// 00000000766C: D3F30060 0D839190
	buffer_load_dwordx4 a[64:67], v38, s[24:27], 0 offen       // 000000007674: E05C1000 80864026
	v_mfma_f32_16x16x32_fp8_fp8 v[96:99], a[146:147], v[202:203], v[96:99]// 00000000767C: D3F30060 0D839592
	v_mfma_f32_16x16x32_fp8_fp8 v[96:99], a[148:149], v[204:205], v[96:99]// 000000007684: D3F30060 0D839994
	v_mfma_f32_16x16x32_fp8_fp8 v[96:99], a[150:151], v[206:207], v[96:99]// 00000000768C: D3F30060 0D839D96
	v_mfma_f32_16x16x32_fp8_fp8 v[96:99], a[152:153], v[208:209], v[96:99]// 000000007694: D3F30060 0D83A198
	buffer_load_dwordx4 a[68:71], v38, s[24:27], 0 offen offset:1024// 00000000769C: E05C1400 80864426
	v_mfma_f32_16x16x32_fp8_fp8 v[96:99], a[154:155], v[210:211], v[96:99]// 0000000076A4: D3F30060 0D83A59A
	v_mfma_f32_16x16x32_fp8_fp8 v[96:99], a[156:157], v[212:213], v[96:99]// 0000000076AC: D3F30060 0D83A99C
	v_mfma_f32_16x16x32_fp8_fp8 v[96:99], a[158:159], v[214:215], v[96:99]// 0000000076B4: D3F30060 0D83AD9E
	v_mfma_f32_16x16x32_fp8_fp8 v[100:103], a[144:145], v[216:217], v[100:103]// 0000000076BC: D3F30064 0D93B190
	buffer_load_dwordx4 a[72:75], v38, s[24:27], 0 offen offset:2048// 0000000076C4: E05C1800 80864826
	v_mfma_f32_16x16x32_fp8_fp8 v[100:103], a[146:147], v[218:219], v[100:103]// 0000000076CC: D3F30064 0D93B592
	v_mfma_f32_16x16x32_fp8_fp8 v[100:103], a[148:149], v[220:221], v[100:103]// 0000000076D4: D3F30064 0D93B994
	v_mfma_f32_16x16x32_fp8_fp8 v[100:103], a[150:151], v[222:223], v[100:103]// 0000000076DC: D3F30064 0D93BD96
	v_mfma_f32_16x16x32_fp8_fp8 v[100:103], a[152:153], v[224:225], v[100:103]// 0000000076E4: D3F30064 0D93C198
	buffer_load_dwordx4 a[76:79], v38, s[24:27], 0 offen offset:3072// 0000000076EC: E05C1C00 80864C26
	v_mfma_f32_16x16x32_fp8_fp8 v[100:103], a[154:155], v[226:227], v[100:103]// 0000000076F4: D3F30064 0D93C59A
	v_mfma_f32_16x16x32_fp8_fp8 v[100:103], a[156:157], v[228:229], v[100:103]// 0000000076FC: D3F30064 0D93C99C
	v_mfma_f32_16x16x32_fp8_fp8 v[100:103], a[158:159], v[230:231], v[100:103]// 000000007704: D3F30064 0D93CD9E
	s_add_u32 s60, 0x200, s80                                  // 00000000770C: 803C50FF 00000200
	s_cmp_lt_u32 s60, s81                                      // 000000007714: BF0A513C
	s_cselect_b32 s57, s57, 0                                  // 000000007718: 85398039
	s_add_u32 s60, 0x200, s80                                  // 00000000771C: 803C50FF 00000200
	s_cmp_lt_u32 s60, s81                                      // 000000007724: BF0A513C
	s_cselect_b32 s58, s58, 0                                  // 000000007728: 853A803A
	s_add_u32 s20, s57, s20                                    // 00000000772C: 80141439
	s_addc_u32 s21, 0, s21                                     // 000000007730: 82151580
	s_add_u32 s24, s58, s24                                    // 000000007734: 8018183A
	s_addc_u32 s25, 0, s25                                     // 000000007738: 82191980
	s_add_u32 s92, s90, s92                                    // 00000000773C: 805C5C5A
	s_addc_u32 s93, 0, s93                                     // 000000007740: 825D5D80
	s_addk_i32 s80, 0x100                                      // 000000007744: B7500100
	s_cmp_lt_i32 s80, s81                                      // 000000007748: BF045150
	s_cbranch_scc0 label_1255                                  // 00000000774C: BF840001
	s_branch label_0EA0                                        // 000000007750: BF82FC4B

0000000000007754 <label_1255>:
	s_mov_b32 s20, 0                                           // 000000007754: BE940080
	s_cmp_lt_u32 s89, s66                                      // 000000007758: BF0A4259
	s_cselect_b32 s60, 0, 1                                    // 00000000775C: 853C8180
	s_lshl1_add_u32 s20, s20, s60                              // 000000007760: 97143C14
	s_cmp_lt_u32 s88, s66                                      // 000000007764: BF0A4258
	s_cselect_b32 s60, 0, 1                                    // 000000007768: 853C8180
	s_lshl1_add_u32 s20, s20, s60                              // 00000000776C: 97143C14
	s_cmp_lt_u32 s87, s66                                      // 000000007770: BF0A4257
	s_cselect_b32 s60, 0, 1                                    // 000000007774: 853C8180
	s_lshl1_add_u32 s20, s20, s60                              // 000000007778: 97143C14
	s_cmp_lt_u32 s86, s66                                      // 00000000777C: BF0A4256
	s_cselect_b32 s60, 0, 1                                    // 000000007780: 853C8180
	s_lshl1_add_u32 s20, s20, s60                              // 000000007784: 97143C14
	s_cmp_lt_u32 s85, s66                                      // 000000007788: BF0A4255
	s_cselect_b32 s60, 0, 1                                    // 00000000778C: 853C8180
	s_lshl1_add_u32 s20, s20, s60                              // 000000007790: 97143C14
	s_cmp_lt_u32 s84, s66                                      // 000000007794: BF0A4254
	s_cselect_b32 s60, 0, 1                                    // 000000007798: 853C8180
	s_lshl1_add_u32 s20, s20, s60                              // 00000000779C: 97143C14
	s_cmp_lt_u32 s83, s66                                      // 0000000077A0: BF0A4253
	s_cselect_b32 s60, 0, 1                                    // 0000000077A4: 853C8180
	s_lshl1_add_u32 s20, s20, s60                              // 0000000077A8: 97143C14
	s_cmp_lt_u32 s82, s66                                      // 0000000077AC: BF0A4252
	s_cselect_b32 s60, 0, 1                                    // 0000000077B0: 853C8180
	s_lshl1_add_u32 s20, s20, s60                              // 0000000077B4: 97143C14
	v_mul_f32_e32 v128, v14, v128                              // 0000000077B8: 0B01010E
	v_mul_f32_e32 v129, v14, v129                              // 0000000077BC: 0B03030E
	v_mul_f32_e32 v130, v14, v130                              // 0000000077C0: 0B05050E
	v_mul_f32_e32 v131, v14, v131                              // 0000000077C4: 0B07070E
	v_mul_f32_dpp v128, v16, v128 row_newbcast:0 row_mask:0xf bank_mask:0xf// 0000000077C8: 0B0100FA FF015010
	v_mul_f32_dpp v129, v16, v129 row_newbcast:1 row_mask:0xf bank_mask:0xf// 0000000077D0: 0B0302FA FF015110
	v_mul_f32_dpp v130, v16, v130 row_newbcast:2 row_mask:0xf bank_mask:0xf// 0000000077D8: 0B0504FA FF015210
	v_mul_f32_dpp v131, v16, v131 row_newbcast:3 row_mask:0xf bank_mask:0xf// 0000000077E0: 0B0706FA FF015310
	v_mul_f32_e32 v132, v15, v132                              // 0000000077E8: 0B09090F
	v_mul_f32_e32 v133, v15, v133                              // 0000000077EC: 0B0B0B0F
	v_mul_f32_e32 v134, v15, v134                              // 0000000077F0: 0B0D0D0F
	v_mul_f32_e32 v135, v15, v135                              // 0000000077F4: 0B0F0F0F
	v_mul_f32_dpp v132, v16, v132 row_newbcast:0 row_mask:0xf bank_mask:0xf// 0000000077F8: 0B0908FA FF015010
	v_mul_f32_dpp v133, v16, v133 row_newbcast:1 row_mask:0xf bank_mask:0xf// 000000007800: 0B0B0AFA FF015110
	v_mul_f32_dpp v134, v16, v134 row_newbcast:2 row_mask:0xf bank_mask:0xf// 000000007808: 0B0D0CFA FF015210
	v_mul_f32_dpp v135, v16, v135 row_newbcast:3 row_mask:0xf bank_mask:0xf// 000000007810: 0B0F0EFA FF015310
	v_mul_f32_e32 v136, v14, v136                              // 000000007818: 0B11110E
	v_mul_f32_e32 v137, v14, v137                              // 00000000781C: 0B13130E
	v_mul_f32_e32 v138, v14, v138                              // 000000007820: 0B15150E
	v_mul_f32_e32 v139, v14, v139                              // 000000007824: 0B17170E
	v_mul_f32_dpp v136, v16, v136 row_newbcast:4 row_mask:0xf bank_mask:0xf// 000000007828: 0B1110FA FF015410
	v_mul_f32_dpp v137, v16, v137 row_newbcast:5 row_mask:0xf bank_mask:0xf// 000000007830: 0B1312FA FF015510
	v_mul_f32_dpp v138, v16, v138 row_newbcast:6 row_mask:0xf bank_mask:0xf// 000000007838: 0B1514FA FF015610
	v_mul_f32_dpp v139, v16, v139 row_newbcast:7 row_mask:0xf bank_mask:0xf// 000000007840: 0B1716FA FF015710
	v_mul_f32_e32 v140, v15, v140                              // 000000007848: 0B19190F
	v_mul_f32_e32 v141, v15, v141                              // 00000000784C: 0B1B1B0F
	v_mul_f32_e32 v142, v15, v142                              // 000000007850: 0B1D1D0F
	v_mul_f32_e32 v143, v15, v143                              // 000000007854: 0B1F1F0F
	v_mul_f32_dpp v140, v16, v140 row_newbcast:4 row_mask:0xf bank_mask:0xf// 000000007858: 0B1918FA FF015410
	v_mul_f32_dpp v141, v16, v141 row_newbcast:5 row_mask:0xf bank_mask:0xf// 000000007860: 0B1B1AFA FF015510
	v_mul_f32_dpp v142, v16, v142 row_newbcast:6 row_mask:0xf bank_mask:0xf// 000000007868: 0B1D1CFA FF015610
	v_mul_f32_dpp v143, v16, v143 row_newbcast:7 row_mask:0xf bank_mask:0xf// 000000007870: 0B1F1EFA FF015710
	v_mul_f32_e32 v144, v14, v144                              // 000000007878: 0B21210E
	v_mul_f32_e32 v145, v14, v145                              // 00000000787C: 0B23230E
	v_mul_f32_e32 v146, v14, v146                              // 000000007880: 0B25250E
	v_mul_f32_e32 v147, v14, v147                              // 000000007884: 0B27270E
	v_mul_f32_dpp v144, v16, v144 row_newbcast:8 row_mask:0xf bank_mask:0xf// 000000007888: 0B2120FA FF015810
	v_mul_f32_dpp v145, v16, v145 row_newbcast:9 row_mask:0xf bank_mask:0xf// 000000007890: 0B2322FA FF015910
	v_mul_f32_dpp v146, v16, v146 row_newbcast:10 row_mask:0xf bank_mask:0xf// 000000007898: 0B2524FA FF015A10
	v_mul_f32_dpp v147, v16, v147 row_newbcast:11 row_mask:0xf bank_mask:0xf// 0000000078A0: 0B2726FA FF015B10
	v_mul_f32_e32 v148, v15, v148                              // 0000000078A8: 0B29290F
	v_mul_f32_e32 v149, v15, v149                              // 0000000078AC: 0B2B2B0F
	v_mul_f32_e32 v150, v15, v150                              // 0000000078B0: 0B2D2D0F
	v_mul_f32_e32 v151, v15, v151                              // 0000000078B4: 0B2F2F0F
	v_mul_f32_dpp v148, v16, v148 row_newbcast:8 row_mask:0xf bank_mask:0xf// 0000000078B8: 0B2928FA FF015810
	v_mul_f32_dpp v149, v16, v149 row_newbcast:9 row_mask:0xf bank_mask:0xf// 0000000078C0: 0B2B2AFA FF015910
	v_mul_f32_dpp v150, v16, v150 row_newbcast:10 row_mask:0xf bank_mask:0xf// 0000000078C8: 0B2D2CFA FF015A10
	v_mul_f32_dpp v151, v16, v151 row_newbcast:11 row_mask:0xf bank_mask:0xf// 0000000078D0: 0B2F2EFA FF015B10
	v_mul_f32_e32 v152, v14, v152                              // 0000000078D8: 0B31310E
	v_mul_f32_e32 v153, v14, v153                              // 0000000078DC: 0B33330E
	v_mul_f32_e32 v154, v14, v154                              // 0000000078E0: 0B35350E
	v_mul_f32_e32 v155, v14, v155                              // 0000000078E4: 0B37370E
	v_mul_f32_dpp v152, v16, v152 row_newbcast:12 row_mask:0xf bank_mask:0xf// 0000000078E8: 0B3130FA FF015C10
	v_mul_f32_dpp v153, v16, v153 row_newbcast:13 row_mask:0xf bank_mask:0xf// 0000000078F0: 0B3332FA FF015D10
	v_mul_f32_dpp v154, v16, v154 row_newbcast:14 row_mask:0xf bank_mask:0xf// 0000000078F8: 0B3534FA FF015E10
	v_mul_f32_dpp v155, v16, v155 row_newbcast:15 row_mask:0xf bank_mask:0xf// 000000007900: 0B3736FA FF015F10
	v_mul_f32_e32 v156, v15, v156                              // 000000007908: 0B39390F
	v_mul_f32_e32 v157, v15, v157                              // 00000000790C: 0B3B3B0F
	v_mul_f32_e32 v158, v15, v158                              // 000000007910: 0B3D3D0F
	v_mul_f32_e32 v159, v15, v159                              // 000000007914: 0B3F3F0F
	v_mul_f32_dpp v156, v16, v156 row_newbcast:12 row_mask:0xf bank_mask:0xf// 000000007918: 0B3938FA FF015C10
	v_mul_f32_dpp v157, v16, v157 row_newbcast:13 row_mask:0xf bank_mask:0xf// 000000007920: 0B3B3AFA FF015D10
	v_mul_f32_dpp v158, v16, v158 row_newbcast:14 row_mask:0xf bank_mask:0xf// 000000007928: 0B3D3CFA FF015E10
	v_mul_f32_dpp v159, v16, v159 row_newbcast:15 row_mask:0xf bank_mask:0xf// 000000007930: 0B3F3EFA FF015F10
	v_mul_f32_e32 v160, v14, v160                              // 000000007938: 0B41410E
	v_mul_f32_e32 v161, v14, v161                              // 00000000793C: 0B43430E
	v_mul_f32_e32 v162, v14, v162                              // 000000007940: 0B45450E
	v_mul_f32_e32 v163, v14, v163                              // 000000007944: 0B47470E
	v_mul_f32_dpp v160, v17, v160 row_newbcast:0 row_mask:0xf bank_mask:0xf// 000000007948: 0B4140FA FF015011
	v_mul_f32_dpp v161, v17, v161 row_newbcast:1 row_mask:0xf bank_mask:0xf// 000000007950: 0B4342FA FF015111
	v_mul_f32_dpp v162, v17, v162 row_newbcast:2 row_mask:0xf bank_mask:0xf// 000000007958: 0B4544FA FF015211
	v_mul_f32_dpp v163, v17, v163 row_newbcast:3 row_mask:0xf bank_mask:0xf// 000000007960: 0B4746FA FF015311
	v_mul_f32_e32 v164, v15, v164                              // 000000007968: 0B49490F
	v_mul_f32_e32 v165, v15, v165                              // 00000000796C: 0B4B4B0F
	v_mul_f32_e32 v166, v15, v166                              // 000000007970: 0B4D4D0F
	v_mul_f32_e32 v167, v15, v167                              // 000000007974: 0B4F4F0F
	v_mul_f32_dpp v164, v17, v164 row_newbcast:0 row_mask:0xf bank_mask:0xf// 000000007978: 0B4948FA FF015011
	v_mul_f32_dpp v165, v17, v165 row_newbcast:1 row_mask:0xf bank_mask:0xf// 000000007980: 0B4B4AFA FF015111
	v_mul_f32_dpp v166, v17, v166 row_newbcast:2 row_mask:0xf bank_mask:0xf// 000000007988: 0B4D4CFA FF015211
	v_mul_f32_dpp v167, v17, v167 row_newbcast:3 row_mask:0xf bank_mask:0xf// 000000007990: 0B4F4EFA FF015311
	v_mul_f32_e32 v64, v14, v64                                // 000000007998: 0A80810E
	v_mul_f32_e32 v65, v14, v65                                // 00000000799C: 0A82830E
	v_mul_f32_e32 v66, v14, v66                                // 0000000079A0: 0A84850E
	v_mul_f32_e32 v67, v14, v67                                // 0000000079A4: 0A86870E
	v_mul_f32_dpp v64, v47, v64 row_newbcast:0 row_mask:0xf bank_mask:0xf// 0000000079A8: 0A8080FA FF01502F
	v_mul_f32_dpp v65, v47, v65 row_newbcast:1 row_mask:0xf bank_mask:0xf// 0000000079B0: 0A8282FA FF01512F
	v_mul_f32_dpp v66, v47, v66 row_newbcast:2 row_mask:0xf bank_mask:0xf// 0000000079B8: 0A8484FA FF01522F
	v_mul_f32_dpp v67, v47, v67 row_newbcast:3 row_mask:0xf bank_mask:0xf// 0000000079C0: 0A8686FA FF01532F
	v_mul_f32_e32 v68, v15, v68                                // 0000000079C8: 0A88890F
	v_mul_f32_e32 v69, v15, v69                                // 0000000079CC: 0A8A8B0F
	v_mul_f32_e32 v70, v15, v70                                // 0000000079D0: 0A8C8D0F
	v_mul_f32_e32 v71, v15, v71                                // 0000000079D4: 0A8E8F0F
	v_mul_f32_dpp v68, v47, v68 row_newbcast:0 row_mask:0xf bank_mask:0xf// 0000000079D8: 0A8888FA FF01502F
	v_mul_f32_dpp v69, v47, v69 row_newbcast:1 row_mask:0xf bank_mask:0xf// 0000000079E0: 0A8A8AFA FF01512F
	v_mul_f32_dpp v70, v47, v70 row_newbcast:2 row_mask:0xf bank_mask:0xf// 0000000079E8: 0A8C8CFA FF01522F
	v_mul_f32_dpp v71, v47, v71 row_newbcast:3 row_mask:0xf bank_mask:0xf// 0000000079F0: 0A8E8EFA FF01532F
	v_mul_f32_e32 v72, v14, v72                                // 0000000079F8: 0A90910E
	v_mul_f32_e32 v73, v14, v73                                // 0000000079FC: 0A92930E
	v_mul_f32_e32 v74, v14, v74                                // 000000007A00: 0A94950E
	v_mul_f32_e32 v75, v14, v75                                // 000000007A04: 0A96970E
	v_mul_f32_dpp v72, v47, v72 row_newbcast:4 row_mask:0xf bank_mask:0xf// 000000007A08: 0A9090FA FF01542F
	v_mul_f32_dpp v73, v47, v73 row_newbcast:5 row_mask:0xf bank_mask:0xf// 000000007A10: 0A9292FA FF01552F
	v_mul_f32_dpp v74, v47, v74 row_newbcast:6 row_mask:0xf bank_mask:0xf// 000000007A18: 0A9494FA FF01562F
	v_mul_f32_dpp v75, v47, v75 row_newbcast:7 row_mask:0xf bank_mask:0xf// 000000007A20: 0A9696FA FF01572F
	v_mul_f32_e32 v76, v15, v76                                // 000000007A28: 0A98990F
	v_mul_f32_e32 v77, v15, v77                                // 000000007A2C: 0A9A9B0F
	v_mul_f32_e32 v78, v15, v78                                // 000000007A30: 0A9C9D0F
	v_mul_f32_e32 v79, v15, v79                                // 000000007A34: 0A9E9F0F
	v_mul_f32_dpp v76, v47, v76 row_newbcast:4 row_mask:0xf bank_mask:0xf// 000000007A38: 0A9898FA FF01542F
	v_mul_f32_dpp v77, v47, v77 row_newbcast:5 row_mask:0xf bank_mask:0xf// 000000007A40: 0A9A9AFA FF01552F
	v_mul_f32_dpp v78, v47, v78 row_newbcast:6 row_mask:0xf bank_mask:0xf// 000000007A48: 0A9C9CFA FF01562F
	v_mul_f32_dpp v79, v47, v79 row_newbcast:7 row_mask:0xf bank_mask:0xf// 000000007A50: 0A9E9EFA FF01572F
	v_mul_f32_e32 v80, v14, v80                                // 000000007A58: 0AA0A10E
	v_mul_f32_e32 v81, v14, v81                                // 000000007A5C: 0AA2A30E
	v_mul_f32_e32 v82, v14, v82                                // 000000007A60: 0AA4A50E
	v_mul_f32_e32 v83, v14, v83                                // 000000007A64: 0AA6A70E
	v_mul_f32_dpp v80, v47, v80 row_newbcast:8 row_mask:0xf bank_mask:0xf// 000000007A68: 0AA0A0FA FF01582F
	v_mul_f32_dpp v81, v47, v81 row_newbcast:9 row_mask:0xf bank_mask:0xf// 000000007A70: 0AA2A2FA FF01592F
	v_mul_f32_dpp v82, v47, v82 row_newbcast:10 row_mask:0xf bank_mask:0xf// 000000007A78: 0AA4A4FA FF015A2F
	v_mul_f32_dpp v83, v47, v83 row_newbcast:11 row_mask:0xf bank_mask:0xf// 000000007A80: 0AA6A6FA FF015B2F
	v_mul_f32_e32 v84, v15, v84                                // 000000007A88: 0AA8A90F
	v_mul_f32_e32 v85, v15, v85                                // 000000007A8C: 0AAAAB0F
	v_mul_f32_e32 v86, v15, v86                                // 000000007A90: 0AACAD0F
	v_mul_f32_e32 v87, v15, v87                                // 000000007A94: 0AAEAF0F
	v_mul_f32_dpp v84, v47, v84 row_newbcast:8 row_mask:0xf bank_mask:0xf// 000000007A98: 0AA8A8FA FF01582F
	v_mul_f32_dpp v85, v47, v85 row_newbcast:9 row_mask:0xf bank_mask:0xf// 000000007AA0: 0AAAAAFA FF01592F
	v_mul_f32_dpp v86, v47, v86 row_newbcast:10 row_mask:0xf bank_mask:0xf// 000000007AA8: 0AACACFA FF015A2F
	v_mul_f32_dpp v87, v47, v87 row_newbcast:11 row_mask:0xf bank_mask:0xf// 000000007AB0: 0AAEAEFA FF015B2F
	v_mul_f32_e32 v88, v14, v88                                // 000000007AB8: 0AB0B10E
	v_mul_f32_e32 v89, v14, v89                                // 000000007ABC: 0AB2B30E
	v_mul_f32_e32 v90, v14, v90                                // 000000007AC0: 0AB4B50E
	v_mul_f32_e32 v91, v14, v91                                // 000000007AC4: 0AB6B70E
	v_mul_f32_dpp v88, v47, v88 row_newbcast:12 row_mask:0xf bank_mask:0xf// 000000007AC8: 0AB0B0FA FF015C2F
	v_mul_f32_dpp v89, v47, v89 row_newbcast:13 row_mask:0xf bank_mask:0xf// 000000007AD0: 0AB2B2FA FF015D2F
	v_mul_f32_dpp v90, v47, v90 row_newbcast:14 row_mask:0xf bank_mask:0xf// 000000007AD8: 0AB4B4FA FF015E2F
	v_mul_f32_dpp v91, v47, v91 row_newbcast:15 row_mask:0xf bank_mask:0xf// 000000007AE0: 0AB6B6FA FF015F2F
	v_mul_f32_e32 v92, v15, v92                                // 000000007AE8: 0AB8B90F
	v_mul_f32_e32 v93, v15, v93                                // 000000007AEC: 0ABABB0F
	v_mul_f32_e32 v94, v15, v94                                // 000000007AF0: 0ABCBD0F
	v_mul_f32_e32 v95, v15, v95                                // 000000007AF4: 0ABEBF0F
	v_mul_f32_dpp v92, v47, v92 row_newbcast:12 row_mask:0xf bank_mask:0xf// 000000007AF8: 0AB8B8FA FF015C2F
	v_mul_f32_dpp v93, v47, v93 row_newbcast:13 row_mask:0xf bank_mask:0xf// 000000007B00: 0ABABAFA FF015D2F
	v_mul_f32_dpp v94, v47, v94 row_newbcast:14 row_mask:0xf bank_mask:0xf// 000000007B08: 0ABCBCFA FF015E2F
	v_mul_f32_dpp v95, v47, v95 row_newbcast:15 row_mask:0xf bank_mask:0xf// 000000007B10: 0ABEBEFA FF015F2F
	v_mul_f32_e32 v96, v14, v96                                // 000000007B18: 0AC0C10E
	v_mul_f32_e32 v97, v14, v97                                // 000000007B1C: 0AC2C30E
	v_mul_f32_e32 v98, v14, v98                                // 000000007B20: 0AC4C50E
	v_mul_f32_e32 v99, v14, v99                                // 000000007B24: 0AC6C70E
	v_mul_f32_dpp v96, v48, v96 row_newbcast:0 row_mask:0xf bank_mask:0xf// 000000007B28: 0AC0C0FA FF015030
	v_mul_f32_dpp v97, v48, v97 row_newbcast:1 row_mask:0xf bank_mask:0xf// 000000007B30: 0AC2C2FA FF015130
	v_mul_f32_dpp v98, v48, v98 row_newbcast:2 row_mask:0xf bank_mask:0xf// 000000007B38: 0AC4C4FA FF015230
	v_mul_f32_dpp v99, v48, v99 row_newbcast:3 row_mask:0xf bank_mask:0xf// 000000007B40: 0AC6C6FA FF015330
	v_mul_f32_e32 v100, v15, v100                              // 000000007B48: 0AC8C90F
	v_mul_f32_e32 v101, v15, v101                              // 000000007B4C: 0ACACB0F
	v_mul_f32_e32 v102, v15, v102                              // 000000007B50: 0ACCCD0F
	v_mul_f32_e32 v103, v15, v103                              // 000000007B54: 0ACECF0F
	v_mul_f32_dpp v100, v48, v100 row_newbcast:0 row_mask:0xf bank_mask:0xf// 000000007B58: 0AC8C8FA FF015030
	v_mul_f32_dpp v101, v48, v101 row_newbcast:1 row_mask:0xf bank_mask:0xf// 000000007B60: 0ACACAFA FF015130
	v_mul_f32_dpp v102, v48, v102 row_newbcast:2 row_mask:0xf bank_mask:0xf// 000000007B68: 0ACCCCFA FF015230
	v_mul_f32_dpp v103, v48, v103 row_newbcast:3 row_mask:0xf bank_mask:0xf// 000000007B70: 0ACECEFA FF015330
	s_waitcnt vmcnt(16)                                        // 000000007B78: BF8C4F70
	buffer_load_dwordx4 a[0:3], v39, s[12:15], 0 offen         // 000000007B7C: E05C1000 80830027
	v_mul_f32_e32 v50, v128, v128                              // 000000007B84: 0A650180
	v_mul_f32_e32 v51, v129, v129                              // 000000007B88: 0A670381
	v_mul_f32_e32 v52, v130, v130                              // 000000007B8C: 0A690582
	v_mul_f32_e32 v53, v131, v131                              // 000000007B90: 0A6B0783
	v_fma_f32 v50, v50, s77, v1                                // 000000007B94: D1CB0032 04049B32
	v_fma_f32 v51, v51, s77, v1                                // 000000007B9C: D1CB0033 04049B33
	v_fma_f32 v52, v52, s77, v1                                // 000000007BA4: D1CB0034 04049B34
	v_fma_f32 v53, v53, s77, v1                                // 000000007BAC: D1CB0035 04049B35
	v_mul_f32_e32 v50, v50, v128                               // 000000007BB4: 0A650132
	v_mul_f32_e32 v51, v51, v129                               // 000000007BB8: 0A670333
	v_mul_f32_e32 v52, v52, v130                               // 000000007BBC: 0A690534
	v_mul_f32_e32 v53, v53, v131                               // 000000007BC0: 0A6B0735
	v_mul_f32_e64 v50, v50, s6                                 // 000000007BC4: D1050032 00000D32
	v_mul_f32_e64 v51, v51, s6                                 // 000000007BCC: D1050033 00000D33
	v_mul_f32_e64 v52, v52, s6                                 // 000000007BD4: D1050034 00000D34
	v_mul_f32_e64 v53, v53, s6                                 // 000000007BDC: D1050035 00000D35
	v_exp_f32_e32 v50, v50                                     // 000000007BE4: 7E644132
	v_exp_f32_e32 v51, v51                                     // 000000007BE8: 7E664133
	v_exp_f32_e32 v52, v52                                     // 000000007BEC: 7E684134
	v_exp_f32_e32 v53, v53                                     // 000000007BF0: 7E6A4135
	buffer_load_dwordx4 a[4:7], v40, s[12:15], 0 offen         // 000000007BF4: E05C1000 80830428
	v_add_f32_e64 v50, v50, 1.0                                // 000000007BFC: D1010032 0001E532
	v_add_f32_e64 v51, v51, 1.0                                // 000000007C04: D1010033 0001E533
	v_add_f32_e64 v52, v52, 1.0                                // 000000007C0C: D1010034 0001E534
	v_add_f32_e64 v53, v53, 1.0                                // 000000007C14: D1010035 0001E535
	v_rcp_f32_e32 v50, v50                                     // 000000007C1C: 7E644532
	v_rcp_f32_e32 v51, v51                                     // 000000007C20: 7E664533
	v_rcp_f32_e32 v52, v52                                     // 000000007C24: 7E684534
	v_rcp_f32_e32 v53, v53                                     // 000000007C28: 7E6A4535
	v_mul_f32_e32 v128, v128, v50                              // 000000007C2C: 0B006580
	v_mul_f32_e32 v129, v129, v51                              // 000000007C30: 0B026781
	v_mul_f32_e32 v130, v130, v52                              // 000000007C34: 0B046982
	v_mul_f32_e32 v131, v131, v53                              // 000000007C38: 0B066B83
	v_mul_f32_e32 v128, v128, v64                              // 000000007C3C: 0B008180
	v_mul_f32_e32 v129, v129, v65                              // 000000007C40: 0B028381
	v_mul_f32_e32 v130, v130, v66                              // 000000007C44: 0B048582
	v_mul_f32_e32 v131, v131, v67                              // 000000007C48: 0B068783
	buffer_load_dwordx4 a[8:11], v41, s[12:15], 0 offen        // 000000007C4C: E05C1000 80830829
	v_mul_f32_e32 v50, v132, v132                              // 000000007C54: 0A650984
	v_mul_f32_e32 v51, v133, v133                              // 000000007C58: 0A670B85
	v_mul_f32_e32 v52, v134, v134                              // 000000007C5C: 0A690D86
	v_mul_f32_e32 v53, v135, v135                              // 000000007C60: 0A6B0F87
	v_fma_f32 v50, v50, s77, v1                                // 000000007C64: D1CB0032 04049B32
	v_fma_f32 v51, v51, s77, v1                                // 000000007C6C: D1CB0033 04049B33
	v_fma_f32 v52, v52, s77, v1                                // 000000007C74: D1CB0034 04049B34
	v_fma_f32 v53, v53, s77, v1                                // 000000007C7C: D1CB0035 04049B35
	v_mul_f32_e32 v50, v50, v132                               // 000000007C84: 0A650932
	v_mul_f32_e32 v51, v51, v133                               // 000000007C88: 0A670B33
	v_mul_f32_e32 v52, v52, v134                               // 000000007C8C: 0A690D34
	v_mul_f32_e32 v53, v53, v135                               // 000000007C90: 0A6B0F35
	v_mul_f32_e64 v50, v50, s6                                 // 000000007C94: D1050032 00000D32
	v_mul_f32_e64 v51, v51, s6                                 // 000000007C9C: D1050033 00000D33
	v_mul_f32_e64 v52, v52, s6                                 // 000000007CA4: D1050034 00000D34
	v_mul_f32_e64 v53, v53, s6                                 // 000000007CAC: D1050035 00000D35
	v_exp_f32_e32 v50, v50                                     // 000000007CB4: 7E644132
	v_exp_f32_e32 v51, v51                                     // 000000007CB8: 7E664133
	v_exp_f32_e32 v52, v52                                     // 000000007CBC: 7E684134
	v_exp_f32_e32 v53, v53                                     // 000000007CC0: 7E6A4135
	buffer_load_dwordx4 a[12:15], v42, s[12:15], 0 offen       // 000000007CC4: E05C1000 80830C2A
	s_add_u32 s12, s78, s12                                    // 000000007CCC: 800C0C4E
	s_addc_u32 s13, 0, s13                                     // 000000007CD0: 820D0D80
	v_add_f32_e64 v50, v50, 1.0                                // 000000007CD4: D1010032 0001E532
	v_add_f32_e64 v51, v51, 1.0                                // 000000007CDC: D1010033 0001E533
	v_add_f32_e64 v52, v52, 1.0                                // 000000007CE4: D1010034 0001E534
	v_add_f32_e64 v53, v53, 1.0                                // 000000007CEC: D1010035 0001E535
	v_rcp_f32_e32 v50, v50                                     // 000000007CF4: 7E644532
	v_rcp_f32_e32 v51, v51                                     // 000000007CF8: 7E664533
	v_rcp_f32_e32 v52, v52                                     // 000000007CFC: 7E684534
	v_rcp_f32_e32 v53, v53                                     // 000000007D00: 7E6A4535
	v_mul_f32_e32 v132, v132, v50                              // 000000007D04: 0B086584
	v_mul_f32_e32 v133, v133, v51                              // 000000007D08: 0B0A6785
	v_mul_f32_e32 v134, v134, v52                              // 000000007D0C: 0B0C6986
	v_mul_f32_e32 v135, v135, v53                              // 000000007D10: 0B0E6B87
	v_mul_f32_e32 v132, v132, v68                              // 000000007D14: 0B088984
	v_mul_f32_e32 v133, v133, v69                              // 000000007D18: 0B0A8B85
	v_mul_f32_e32 v134, v134, v70                              // 000000007D1C: 0B0C8D86
	v_mul_f32_e32 v135, v135, v71                              // 000000007D20: 0B0E8F87
	s_waitcnt vmcnt(16)                                        // 000000007D24: BF8C4F70
	buffer_load_dwordx4 a[16:19], v39, s[12:15], 0 offen       // 000000007D28: E05C1000 80831027
	v_mul_f32_e32 v50, v136, v136                              // 000000007D30: 0A651188
	v_mul_f32_e32 v51, v137, v137                              // 000000007D34: 0A671389
	v_mul_f32_e32 v52, v138, v138                              // 000000007D38: 0A69158A
	v_mul_f32_e32 v53, v139, v139                              // 000000007D3C: 0A6B178B
	v_fma_f32 v50, v50, s77, v1                                // 000000007D40: D1CB0032 04049B32
	v_fma_f32 v51, v51, s77, v1                                // 000000007D48: D1CB0033 04049B33
	v_fma_f32 v52, v52, s77, v1                                // 000000007D50: D1CB0034 04049B34
	v_fma_f32 v53, v53, s77, v1                                // 000000007D58: D1CB0035 04049B35
	v_mul_f32_e32 v50, v50, v136                               // 000000007D60: 0A651132
	v_mul_f32_e32 v51, v51, v137                               // 000000007D64: 0A671333
	v_mul_f32_e32 v52, v52, v138                               // 000000007D68: 0A691534
	v_mul_f32_e32 v53, v53, v139                               // 000000007D6C: 0A6B1735
	v_mul_f32_e64 v50, v50, s6                                 // 000000007D70: D1050032 00000D32
	v_mul_f32_e64 v51, v51, s6                                 // 000000007D78: D1050033 00000D33
	v_mul_f32_e64 v52, v52, s6                                 // 000000007D80: D1050034 00000D34
	v_mul_f32_e64 v53, v53, s6                                 // 000000007D88: D1050035 00000D35
	v_exp_f32_e32 v50, v50                                     // 000000007D90: 7E644132
	v_exp_f32_e32 v51, v51                                     // 000000007D94: 7E664133
	v_exp_f32_e32 v52, v52                                     // 000000007D98: 7E684134
	v_exp_f32_e32 v53, v53                                     // 000000007D9C: 7E6A4135
	buffer_load_dwordx4 a[20:23], v40, s[12:15], 0 offen       // 000000007DA0: E05C1000 80831428
	v_add_f32_e64 v50, v50, 1.0                                // 000000007DA8: D1010032 0001E532
	v_add_f32_e64 v51, v51, 1.0                                // 000000007DB0: D1010033 0001E533
	v_add_f32_e64 v52, v52, 1.0                                // 000000007DB8: D1010034 0001E534
	v_add_f32_e64 v53, v53, 1.0                                // 000000007DC0: D1010035 0001E535
	v_rcp_f32_e32 v50, v50                                     // 000000007DC8: 7E644532
	v_rcp_f32_e32 v51, v51                                     // 000000007DCC: 7E664533
	v_rcp_f32_e32 v52, v52                                     // 000000007DD0: 7E684534
	v_rcp_f32_e32 v53, v53                                     // 000000007DD4: 7E6A4535
	v_mul_f32_e32 v136, v136, v50                              // 000000007DD8: 0B106588
	v_mul_f32_e32 v137, v137, v51                              // 000000007DDC: 0B126789
	v_mul_f32_e32 v138, v138, v52                              // 000000007DE0: 0B14698A
	v_mul_f32_e32 v139, v139, v53                              // 000000007DE4: 0B166B8B
	v_mul_f32_e32 v136, v136, v72                              // 000000007DE8: 0B109188
	v_mul_f32_e32 v137, v137, v73                              // 000000007DEC: 0B129389
	v_mul_f32_e32 v138, v138, v74                              // 000000007DF0: 0B14958A
	v_mul_f32_e32 v139, v139, v75                              // 000000007DF4: 0B16978B
	buffer_load_dwordx4 a[24:27], v41, s[12:15], 0 offen       // 000000007DF8: E05C1000 80831829
	v_mul_f32_e32 v50, v140, v140                              // 000000007E00: 0A65198C
	v_mul_f32_e32 v51, v141, v141                              // 000000007E04: 0A671B8D
	v_mul_f32_e32 v52, v142, v142                              // 000000007E08: 0A691D8E
	v_mul_f32_e32 v53, v143, v143                              // 000000007E0C: 0A6B1F8F
	v_fma_f32 v50, v50, s77, v1                                // 000000007E10: D1CB0032 04049B32
	v_fma_f32 v51, v51, s77, v1                                // 000000007E18: D1CB0033 04049B33
	v_fma_f32 v52, v52, s77, v1                                // 000000007E20: D1CB0034 04049B34
	v_fma_f32 v53, v53, s77, v1                                // 000000007E28: D1CB0035 04049B35
	v_mul_f32_e32 v50, v50, v140                               // 000000007E30: 0A651932
	v_mul_f32_e32 v51, v51, v141                               // 000000007E34: 0A671B33
	v_mul_f32_e32 v52, v52, v142                               // 000000007E38: 0A691D34
	v_mul_f32_e32 v53, v53, v143                               // 000000007E3C: 0A6B1F35
	v_mul_f32_e64 v50, v50, s6                                 // 000000007E40: D1050032 00000D32
	v_mul_f32_e64 v51, v51, s6                                 // 000000007E48: D1050033 00000D33
	v_mul_f32_e64 v52, v52, s6                                 // 000000007E50: D1050034 00000D34
	v_mul_f32_e64 v53, v53, s6                                 // 000000007E58: D1050035 00000D35
	v_exp_f32_e32 v50, v50                                     // 000000007E60: 7E644132
	v_exp_f32_e32 v51, v51                                     // 000000007E64: 7E664133
	v_exp_f32_e32 v52, v52                                     // 000000007E68: 7E684134
	v_exp_f32_e32 v53, v53                                     // 000000007E6C: 7E6A4135
	buffer_load_dwordx4 a[28:31], v42, s[12:15], 0 offen       // 000000007E70: E05C1000 80831C2A
	s_add_u32 s12, s78, s12                                    // 000000007E78: 800C0C4E
	s_addc_u32 s13, 0, s13                                     // 000000007E7C: 820D0D80
	v_add_f32_e64 v50, v50, 1.0                                // 000000007E80: D1010032 0001E532
	v_add_f32_e64 v51, v51, 1.0                                // 000000007E88: D1010033 0001E533
	v_add_f32_e64 v52, v52, 1.0                                // 000000007E90: D1010034 0001E534
	v_add_f32_e64 v53, v53, 1.0                                // 000000007E98: D1010035 0001E535
	v_rcp_f32_e32 v50, v50                                     // 000000007EA0: 7E644532
	v_rcp_f32_e32 v51, v51                                     // 000000007EA4: 7E664533
	v_rcp_f32_e32 v52, v52                                     // 000000007EA8: 7E684534
	v_rcp_f32_e32 v53, v53                                     // 000000007EAC: 7E6A4535
	v_mul_f32_e32 v140, v140, v50                              // 000000007EB0: 0B18658C
	v_mul_f32_e32 v141, v141, v51                              // 000000007EB4: 0B1A678D
	v_mul_f32_e32 v142, v142, v52                              // 000000007EB8: 0B1C698E
	v_mul_f32_e32 v143, v143, v53                              // 000000007EBC: 0B1E6B8F
	v_mul_f32_e32 v140, v140, v76                              // 000000007EC0: 0B18998C
	v_mul_f32_e32 v141, v141, v77                              // 000000007EC4: 0B1A9B8D
	v_mul_f32_e32 v142, v142, v78                              // 000000007EC8: 0B1C9D8E
	v_mul_f32_e32 v143, v143, v79                              // 000000007ECC: 0B1E9F8F
	s_waitcnt vmcnt(16)                                        // 000000007ED0: BF8C4F70
	buffer_load_dwordx4 a[32:35], v39, s[12:15], 0 offen       // 000000007ED4: E05C1000 80832027
	v_mul_f32_e32 v50, v144, v144                              // 000000007EDC: 0A652190
	v_mul_f32_e32 v51, v145, v145                              // 000000007EE0: 0A672391
	v_mul_f32_e32 v52, v146, v146                              // 000000007EE4: 0A692592
	v_mul_f32_e32 v53, v147, v147                              // 000000007EE8: 0A6B2793
	v_fma_f32 v50, v50, s77, v1                                // 000000007EEC: D1CB0032 04049B32
	v_fma_f32 v51, v51, s77, v1                                // 000000007EF4: D1CB0033 04049B33
	v_fma_f32 v52, v52, s77, v1                                // 000000007EFC: D1CB0034 04049B34
	v_fma_f32 v53, v53, s77, v1                                // 000000007F04: D1CB0035 04049B35
	v_mul_f32_e32 v50, v50, v144                               // 000000007F0C: 0A652132
	v_mul_f32_e32 v51, v51, v145                               // 000000007F10: 0A672333
	v_mul_f32_e32 v52, v52, v146                               // 000000007F14: 0A692534
	v_mul_f32_e32 v53, v53, v147                               // 000000007F18: 0A6B2735
	v_mul_f32_e64 v50, v50, s6                                 // 000000007F1C: D1050032 00000D32
	v_mul_f32_e64 v51, v51, s6                                 // 000000007F24: D1050033 00000D33
	v_mul_f32_e64 v52, v52, s6                                 // 000000007F2C: D1050034 00000D34
	v_mul_f32_e64 v53, v53, s6                                 // 000000007F34: D1050035 00000D35
	v_exp_f32_e32 v50, v50                                     // 000000007F3C: 7E644132
	v_exp_f32_e32 v51, v51                                     // 000000007F40: 7E664133
	v_exp_f32_e32 v52, v52                                     // 000000007F44: 7E684134
	v_exp_f32_e32 v53, v53                                     // 000000007F48: 7E6A4135
	buffer_load_dwordx4 a[36:39], v40, s[12:15], 0 offen       // 000000007F4C: E05C1000 80832428
	v_add_f32_e64 v50, v50, 1.0                                // 000000007F54: D1010032 0001E532
	v_add_f32_e64 v51, v51, 1.0                                // 000000007F5C: D1010033 0001E533
	v_add_f32_e64 v52, v52, 1.0                                // 000000007F64: D1010034 0001E534
	v_add_f32_e64 v53, v53, 1.0                                // 000000007F6C: D1010035 0001E535
	v_rcp_f32_e32 v50, v50                                     // 000000007F74: 7E644532
	v_rcp_f32_e32 v51, v51                                     // 000000007F78: 7E664533
	v_rcp_f32_e32 v52, v52                                     // 000000007F7C: 7E684534
	v_rcp_f32_e32 v53, v53                                     // 000000007F80: 7E6A4535
	v_mul_f32_e32 v144, v144, v50                              // 000000007F84: 0B206590
	v_mul_f32_e32 v145, v145, v51                              // 000000007F88: 0B226791
	v_mul_f32_e32 v146, v146, v52                              // 000000007F8C: 0B246992
	v_mul_f32_e32 v147, v147, v53                              // 000000007F90: 0B266B93
	v_mul_f32_e32 v144, v144, v80                              // 000000007F94: 0B20A190
	v_mul_f32_e32 v145, v145, v81                              // 000000007F98: 0B22A391
	v_mul_f32_e32 v146, v146, v82                              // 000000007F9C: 0B24A592
	v_mul_f32_e32 v147, v147, v83                              // 000000007FA0: 0B26A793
	buffer_load_dwordx4 a[40:43], v41, s[12:15], 0 offen       // 000000007FA4: E05C1000 80832829
	v_mul_f32_e32 v50, v148, v148                              // 000000007FAC: 0A652994
	v_mul_f32_e32 v51, v149, v149                              // 000000007FB0: 0A672B95
	v_mul_f32_e32 v52, v150, v150                              // 000000007FB4: 0A692D96
	v_mul_f32_e32 v53, v151, v151                              // 000000007FB8: 0A6B2F97
	v_fma_f32 v50, v50, s77, v1                                // 000000007FBC: D1CB0032 04049B32
	v_fma_f32 v51, v51, s77, v1                                // 000000007FC4: D1CB0033 04049B33
	v_fma_f32 v52, v52, s77, v1                                // 000000007FCC: D1CB0034 04049B34
	v_fma_f32 v53, v53, s77, v1                                // 000000007FD4: D1CB0035 04049B35
	v_mul_f32_e32 v50, v50, v148                               // 000000007FDC: 0A652932
	v_mul_f32_e32 v51, v51, v149                               // 000000007FE0: 0A672B33
	v_mul_f32_e32 v52, v52, v150                               // 000000007FE4: 0A692D34
	v_mul_f32_e32 v53, v53, v151                               // 000000007FE8: 0A6B2F35
	v_mul_f32_e64 v50, v50, s6                                 // 000000007FEC: D1050032 00000D32
	v_mul_f32_e64 v51, v51, s6                                 // 000000007FF4: D1050033 00000D33
	v_mul_f32_e64 v52, v52, s6                                 // 000000007FFC: D1050034 00000D34
	v_mul_f32_e64 v53, v53, s6                                 // 000000008004: D1050035 00000D35
	v_exp_f32_e32 v50, v50                                     // 00000000800C: 7E644132
	v_exp_f32_e32 v51, v51                                     // 000000008010: 7E664133
	v_exp_f32_e32 v52, v52                                     // 000000008014: 7E684134
	v_exp_f32_e32 v53, v53                                     // 000000008018: 7E6A4135
	buffer_load_dwordx4 a[44:47], v42, s[12:15], 0 offen       // 00000000801C: E05C1000 80832C2A
	s_add_u32 s12, s78, s12                                    // 000000008024: 800C0C4E
	s_addc_u32 s13, 0, s13                                     // 000000008028: 820D0D80
	v_add_f32_e64 v50, v50, 1.0                                // 00000000802C: D1010032 0001E532
	v_add_f32_e64 v51, v51, 1.0                                // 000000008034: D1010033 0001E533
	v_add_f32_e64 v52, v52, 1.0                                // 00000000803C: D1010034 0001E534
	v_add_f32_e64 v53, v53, 1.0                                // 000000008044: D1010035 0001E535
	v_rcp_f32_e32 v50, v50                                     // 00000000804C: 7E644532
	v_rcp_f32_e32 v51, v51                                     // 000000008050: 7E664533
	v_rcp_f32_e32 v52, v52                                     // 000000008054: 7E684534
	v_rcp_f32_e32 v53, v53                                     // 000000008058: 7E6A4535
	v_mul_f32_e32 v148, v148, v50                              // 00000000805C: 0B286594
	v_mul_f32_e32 v149, v149, v51                              // 000000008060: 0B2A6795
	v_mul_f32_e32 v150, v150, v52                              // 000000008064: 0B2C6996
	v_mul_f32_e32 v151, v151, v53                              // 000000008068: 0B2E6B97
	v_mul_f32_e32 v148, v148, v84                              // 00000000806C: 0B28A994
	v_mul_f32_e32 v149, v149, v85                              // 000000008070: 0B2AAB95
	v_mul_f32_e32 v150, v150, v86                              // 000000008074: 0B2CAD96
	v_mul_f32_e32 v151, v151, v87                              // 000000008078: 0B2EAF97
	s_waitcnt vmcnt(16)                                        // 00000000807C: BF8C4F70
	buffer_load_dwordx4 a[48:51], v39, s[12:15], 0 offen       // 000000008080: E05C1000 80833027
	v_mul_f32_e32 v50, v152, v152                              // 000000008088: 0A653198
	v_mul_f32_e32 v51, v153, v153                              // 00000000808C: 0A673399
	v_mul_f32_e32 v52, v154, v154                              // 000000008090: 0A69359A
	v_mul_f32_e32 v53, v155, v155                              // 000000008094: 0A6B379B
	v_fma_f32 v50, v50, s77, v1                                // 000000008098: D1CB0032 04049B32
	v_fma_f32 v51, v51, s77, v1                                // 0000000080A0: D1CB0033 04049B33
	v_fma_f32 v52, v52, s77, v1                                // 0000000080A8: D1CB0034 04049B34
	v_fma_f32 v53, v53, s77, v1                                // 0000000080B0: D1CB0035 04049B35
	v_mul_f32_e32 v50, v50, v152                               // 0000000080B8: 0A653132
	v_mul_f32_e32 v51, v51, v153                               // 0000000080BC: 0A673333
	v_mul_f32_e32 v52, v52, v154                               // 0000000080C0: 0A693534
	v_mul_f32_e32 v53, v53, v155                               // 0000000080C4: 0A6B3735
	v_mul_f32_e64 v50, v50, s6                                 // 0000000080C8: D1050032 00000D32
	v_mul_f32_e64 v51, v51, s6                                 // 0000000080D0: D1050033 00000D33
	v_mul_f32_e64 v52, v52, s6                                 // 0000000080D8: D1050034 00000D34
	v_mul_f32_e64 v53, v53, s6                                 // 0000000080E0: D1050035 00000D35
	v_exp_f32_e32 v50, v50                                     // 0000000080E8: 7E644132
	v_exp_f32_e32 v51, v51                                     // 0000000080EC: 7E664133
	v_exp_f32_e32 v52, v52                                     // 0000000080F0: 7E684134
	v_exp_f32_e32 v53, v53                                     // 0000000080F4: 7E6A4135
	buffer_load_dwordx4 a[52:55], v40, s[12:15], 0 offen       // 0000000080F8: E05C1000 80833428
	v_add_f32_e64 v50, v50, 1.0                                // 000000008100: D1010032 0001E532
	v_add_f32_e64 v51, v51, 1.0                                // 000000008108: D1010033 0001E533
	v_add_f32_e64 v52, v52, 1.0                                // 000000008110: D1010034 0001E534
	v_add_f32_e64 v53, v53, 1.0                                // 000000008118: D1010035 0001E535
	v_rcp_f32_e32 v50, v50                                     // 000000008120: 7E644532
	v_rcp_f32_e32 v51, v51                                     // 000000008124: 7E664533
	v_rcp_f32_e32 v52, v52                                     // 000000008128: 7E684534
	v_rcp_f32_e32 v53, v53                                     // 00000000812C: 7E6A4535
	v_mul_f32_e32 v152, v152, v50                              // 000000008130: 0B306598
	v_mul_f32_e32 v153, v153, v51                              // 000000008134: 0B326799
	v_mul_f32_e32 v154, v154, v52                              // 000000008138: 0B34699A
	v_mul_f32_e32 v155, v155, v53                              // 00000000813C: 0B366B9B
	v_mul_f32_e32 v152, v152, v88                              // 000000008140: 0B30B198
	v_mul_f32_e32 v153, v153, v89                              // 000000008144: 0B32B399
	v_mul_f32_e32 v154, v154, v90                              // 000000008148: 0B34B59A
	v_mul_f32_e32 v155, v155, v91                              // 00000000814C: 0B36B79B
	buffer_load_dwordx4 a[56:59], v41, s[12:15], 0 offen       // 000000008150: E05C1000 80833829
	v_mul_f32_e32 v50, v156, v156                              // 000000008158: 0A65399C
	v_mul_f32_e32 v51, v157, v157                              // 00000000815C: 0A673B9D
	v_mul_f32_e32 v52, v158, v158                              // 000000008160: 0A693D9E
	v_mul_f32_e32 v53, v159, v159                              // 000000008164: 0A6B3F9F
	v_fma_f32 v50, v50, s77, v1                                // 000000008168: D1CB0032 04049B32
	v_fma_f32 v51, v51, s77, v1                                // 000000008170: D1CB0033 04049B33
	v_fma_f32 v52, v52, s77, v1                                // 000000008178: D1CB0034 04049B34
	v_fma_f32 v53, v53, s77, v1                                // 000000008180: D1CB0035 04049B35
	v_mul_f32_e32 v50, v50, v156                               // 000000008188: 0A653932
	v_mul_f32_e32 v51, v51, v157                               // 00000000818C: 0A673B33
	v_mul_f32_e32 v52, v52, v158                               // 000000008190: 0A693D34
	v_mul_f32_e32 v53, v53, v159                               // 000000008194: 0A6B3F35
	v_mul_f32_e64 v50, v50, s6                                 // 000000008198: D1050032 00000D32
	v_mul_f32_e64 v51, v51, s6                                 // 0000000081A0: D1050033 00000D33
	v_mul_f32_e64 v52, v52, s6                                 // 0000000081A8: D1050034 00000D34
	v_mul_f32_e64 v53, v53, s6                                 // 0000000081B0: D1050035 00000D35
	v_exp_f32_e32 v50, v50                                     // 0000000081B8: 7E644132
	v_exp_f32_e32 v51, v51                                     // 0000000081BC: 7E664133
	v_exp_f32_e32 v52, v52                                     // 0000000081C0: 7E684134
	v_exp_f32_e32 v53, v53                                     // 0000000081C4: 7E6A4135
	buffer_load_dwordx4 a[60:63], v42, s[12:15], 0 offen       // 0000000081C8: E05C1000 80833C2A
	s_add_u32 s12, s78, s12                                    // 0000000081D0: 800C0C4E
	s_addc_u32 s13, 0, s13                                     // 0000000081D4: 820D0D80
	v_add_f32_e64 v50, v50, 1.0                                // 0000000081D8: D1010032 0001E532
	v_add_f32_e64 v51, v51, 1.0                                // 0000000081E0: D1010033 0001E533
	v_add_f32_e64 v52, v52, 1.0                                // 0000000081E8: D1010034 0001E534
	v_add_f32_e64 v53, v53, 1.0                                // 0000000081F0: D1010035 0001E535
	v_rcp_f32_e32 v50, v50                                     // 0000000081F8: 7E644532
	v_rcp_f32_e32 v51, v51                                     // 0000000081FC: 7E664533
	v_rcp_f32_e32 v52, v52                                     // 000000008200: 7E684534
	v_rcp_f32_e32 v53, v53                                     // 000000008204: 7E6A4535
	v_mul_f32_e32 v156, v156, v50                              // 000000008208: 0B38659C
	v_mul_f32_e32 v157, v157, v51                              // 00000000820C: 0B3A679D
	v_mul_f32_e32 v158, v158, v52                              // 000000008210: 0B3C699E
	v_mul_f32_e32 v159, v159, v53                              // 000000008214: 0B3E6B9F
	v_mul_f32_e32 v156, v156, v92                              // 000000008218: 0B38B99C
	v_mul_f32_e32 v157, v157, v93                              // 00000000821C: 0B3ABB9D
	v_mul_f32_e32 v158, v158, v94                              // 000000008220: 0B3CBD9E
	v_mul_f32_e32 v159, v159, v95                              // 000000008224: 0B3EBF9F
	s_waitcnt vmcnt(16)                                        // 000000008228: BF8C4F70
	buffer_load_dwordx4 a[64:67], v39, s[12:15], 0 offen       // 00000000822C: E05C1000 80834027
	v_mul_f32_e32 v50, v160, v160                              // 000000008234: 0A6541A0
	v_mul_f32_e32 v51, v161, v161                              // 000000008238: 0A6743A1
	v_mul_f32_e32 v52, v162, v162                              // 00000000823C: 0A6945A2
	v_mul_f32_e32 v53, v163, v163                              // 000000008240: 0A6B47A3
	v_fma_f32 v50, v50, s77, v1                                // 000000008244: D1CB0032 04049B32
	v_fma_f32 v51, v51, s77, v1                                // 00000000824C: D1CB0033 04049B33
	v_fma_f32 v52, v52, s77, v1                                // 000000008254: D1CB0034 04049B34
	v_fma_f32 v53, v53, s77, v1                                // 00000000825C: D1CB0035 04049B35
	v_mul_f32_e32 v50, v50, v160                               // 000000008264: 0A654132
	v_mul_f32_e32 v51, v51, v161                               // 000000008268: 0A674333
	v_mul_f32_e32 v52, v52, v162                               // 00000000826C: 0A694534
	v_mul_f32_e32 v53, v53, v163                               // 000000008270: 0A6B4735
	v_mul_f32_e64 v50, v50, s6                                 // 000000008274: D1050032 00000D32
	v_mul_f32_e64 v51, v51, s6                                 // 00000000827C: D1050033 00000D33
	v_mul_f32_e64 v52, v52, s6                                 // 000000008284: D1050034 00000D34
	v_mul_f32_e64 v53, v53, s6                                 // 00000000828C: D1050035 00000D35
	v_exp_f32_e32 v50, v50                                     // 000000008294: 7E644132
	v_exp_f32_e32 v51, v51                                     // 000000008298: 7E664133
	v_exp_f32_e32 v52, v52                                     // 00000000829C: 7E684134
	v_exp_f32_e32 v53, v53                                     // 0000000082A0: 7E6A4135
	buffer_load_dwordx4 a[68:71], v40, s[12:15], 0 offen       // 0000000082A4: E05C1000 80834428
	v_add_f32_e64 v50, v50, 1.0                                // 0000000082AC: D1010032 0001E532
	v_add_f32_e64 v51, v51, 1.0                                // 0000000082B4: D1010033 0001E533
	v_add_f32_e64 v52, v52, 1.0                                // 0000000082BC: D1010034 0001E534
	v_add_f32_e64 v53, v53, 1.0                                // 0000000082C4: D1010035 0001E535
	v_rcp_f32_e32 v50, v50                                     // 0000000082CC: 7E644532
	v_rcp_f32_e32 v51, v51                                     // 0000000082D0: 7E664533
	v_rcp_f32_e32 v52, v52                                     // 0000000082D4: 7E684534
	v_rcp_f32_e32 v53, v53                                     // 0000000082D8: 7E6A4535
	v_mul_f32_e32 v160, v160, v50                              // 0000000082DC: 0B4065A0
	v_mul_f32_e32 v161, v161, v51                              // 0000000082E0: 0B4267A1
	v_mul_f32_e32 v162, v162, v52                              // 0000000082E4: 0B4469A2
	v_mul_f32_e32 v163, v163, v53                              // 0000000082E8: 0B466BA3
	v_mul_f32_e32 v160, v160, v96                              // 0000000082EC: 0B40C1A0
	v_mul_f32_e32 v161, v161, v97                              // 0000000082F0: 0B42C3A1
	v_mul_f32_e32 v162, v162, v98                              // 0000000082F4: 0B44C5A2
	v_mul_f32_e32 v163, v163, v99                              // 0000000082F8: 0B46C7A3
	buffer_load_dwordx4 a[72:75], v41, s[12:15], 0 offen       // 0000000082FC: E05C1000 80834829
	v_mul_f32_e32 v50, v164, v164                              // 000000008304: 0A6549A4
	v_mul_f32_e32 v51, v165, v165                              // 000000008308: 0A674BA5
	v_mul_f32_e32 v52, v166, v166                              // 00000000830C: 0A694DA6
	v_mul_f32_e32 v53, v167, v167                              // 000000008310: 0A6B4FA7
	v_fma_f32 v50, v50, s77, v1                                // 000000008314: D1CB0032 04049B32
	v_fma_f32 v51, v51, s77, v1                                // 00000000831C: D1CB0033 04049B33
	v_fma_f32 v52, v52, s77, v1                                // 000000008324: D1CB0034 04049B34
	v_fma_f32 v53, v53, s77, v1                                // 00000000832C: D1CB0035 04049B35
	v_mul_f32_e32 v50, v50, v164                               // 000000008334: 0A654932
	v_mul_f32_e32 v51, v51, v165                               // 000000008338: 0A674B33
	v_mul_f32_e32 v52, v52, v166                               // 00000000833C: 0A694D34
	v_mul_f32_e32 v53, v53, v167                               // 000000008340: 0A6B4F35
	v_mul_f32_e64 v50, v50, s6                                 // 000000008344: D1050032 00000D32
	v_mul_f32_e64 v51, v51, s6                                 // 00000000834C: D1050033 00000D33
	v_mul_f32_e64 v52, v52, s6                                 // 000000008354: D1050034 00000D34
	v_mul_f32_e64 v53, v53, s6                                 // 00000000835C: D1050035 00000D35
	v_exp_f32_e32 v50, v50                                     // 000000008364: 7E644132
	v_exp_f32_e32 v51, v51                                     // 000000008368: 7E664133
	v_exp_f32_e32 v52, v52                                     // 00000000836C: 7E684134
	v_exp_f32_e32 v53, v53                                     // 000000008370: 7E6A4135
	buffer_load_dwordx4 a[76:79], v42, s[12:15], 0 offen       // 000000008374: E05C1000 80834C2A
	v_add_f32_e64 v50, v50, 1.0                                // 00000000837C: D1010032 0001E532
	v_add_f32_e64 v51, v51, 1.0                                // 000000008384: D1010033 0001E533
	v_add_f32_e64 v52, v52, 1.0                                // 00000000838C: D1010034 0001E534
	v_add_f32_e64 v53, v53, 1.0                                // 000000008394: D1010035 0001E535
	v_rcp_f32_e32 v50, v50                                     // 00000000839C: 7E644532
	v_rcp_f32_e32 v51, v51                                     // 0000000083A0: 7E664533
	v_rcp_f32_e32 v52, v52                                     // 0000000083A4: 7E684534
	v_rcp_f32_e32 v53, v53                                     // 0000000083A8: 7E6A4535
	v_mul_f32_e32 v164, v164, v50                              // 0000000083AC: 0B4865A4
	v_mul_f32_e32 v165, v165, v51                              // 0000000083B0: 0B4A67A5
	v_mul_f32_e32 v166, v166, v52                              // 0000000083B4: 0B4C69A6
	v_mul_f32_e32 v167, v167, v53                              // 0000000083B8: 0B4E6BA7
	v_mul_f32_e32 v164, v164, v100                             // 0000000083BC: 0B48C9A4
	v_mul_f32_e32 v165, v165, v101                             // 0000000083C0: 0B4ACBA5
	v_mul_f32_e32 v166, v166, v102                             // 0000000083C4: 0B4CCDA6
	v_mul_f32_e32 v167, v167, v103                             // 0000000083C8: 0B4ECFA7
	v_lshlrev_b32_e32 v50, 2, v0                               // 0000000083CC: 24640082
	s_mul_i32 s60, s82, s71                                    // 0000000083D0: 923C4752
	v_add_u32_e64 v80, v50, s60                                // 0000000083D4: D1340050 00007932
	v_mov_b32_e32 v81, 0                                       // 0000000083DC: 7EA20280
	s_mul_i32 s60, s83, s71                                    // 0000000083E0: 923C4753
	v_add_u32_e64 v82, v50, s60                                // 0000000083E4: D1340052 00007932
	v_mov_b32_e32 v83, 0                                       // 0000000083EC: 7EA60280
	s_mul_i32 s60, s84, s71                                    // 0000000083F0: 923C4754
	v_add_u32_e64 v84, v50, s60                                // 0000000083F4: D1340054 00007932
	v_mov_b32_e32 v85, 0                                       // 0000000083FC: 7EAA0280
	s_mul_i32 s60, s85, s71                                    // 000000008400: 923C4755
	v_add_u32_e64 v86, v50, s60                                // 000000008404: D1340056 00007932
	v_mov_b32_e32 v87, 0                                       // 00000000840C: 7EAE0280
	s_mul_i32 s60, s86, s71                                    // 000000008410: 923C4756
	v_add_u32_e64 v88, v50, s60                                // 000000008414: D1340058 00007932
	v_mov_b32_e32 v89, 0                                       // 00000000841C: 7EB20280
	s_mul_i32 s60, s87, s71                                    // 000000008420: 923C4757
	v_add_u32_e64 v90, v50, s60                                // 000000008424: D134005A 00007932
	v_mov_b32_e32 v91, 0                                       // 00000000842C: 7EB60280
	s_mul_i32 s60, s88, s71                                    // 000000008430: 923C4758
	v_add_u32_e64 v92, v50, s60                                // 000000008434: D134005C 00007932
	v_mov_b32_e32 v93, 0                                       // 00000000843C: 7EBA0280
	s_mul_i32 s60, s89, s71                                    // 000000008440: 923C4759
	v_add_u32_e64 v94, v50, s60                                // 000000008444: D134005E 00007932
	v_mov_b32_e32 v95, 0                                       // 00000000844C: 7EBE0280
	buffer_load_dword v12, v5, s[16:19], 0 offen               // 000000008450: E0501000 80040C05
	v_mov_b32_e32 v22, 0x358637bd                              // 000000008458: 7E2C02FF 358637BD
	v_mov_b32_e32 v23, 0x358637bd                              // 000000008460: 7E2E02FF 358637BD
	v_max3_f32 v22, |v128|, |v129|, v22                        // 000000008468: D1D30316 045B0380
	v_max3_f32 v22, |v130|, |v131|, v22                        // 000000008470: D1D30316 045B0782
	v_max3_f32 v23, |v132|, |v133|, v23                        // 000000008478: D1D30317 045F0B84
	v_max3_f32 v23, |v134|, |v135|, v23                        // 000000008480: D1D30317 045F0F86
	v_max3_f32 v22, |v136|, |v137|, v22                        // 000000008488: D1D30316 045B1388
	v_max3_f32 v22, |v138|, |v139|, v22                        // 000000008490: D1D30316 045B178A
	v_max3_f32 v23, |v140|, |v141|, v23                        // 000000008498: D1D30317 045F1B8C
	v_max3_f32 v23, |v142|, |v143|, v23                        // 0000000084A0: D1D30317 045F1F8E
	v_max3_f32 v22, |v144|, |v145|, v22                        // 0000000084A8: D1D30316 045B2390
	v_max3_f32 v22, |v146|, |v147|, v22                        // 0000000084B0: D1D30316 045B2792
	v_max3_f32 v23, |v148|, |v149|, v23                        // 0000000084B8: D1D30317 045F2B94
	v_max3_f32 v23, |v150|, |v151|, v23                        // 0000000084C0: D1D30317 045F2F96
	v_max3_f32 v22, |v152|, |v153|, v22                        // 0000000084C8: D1D30316 045B3398
	v_max3_f32 v22, |v154|, |v155|, v22                        // 0000000084D0: D1D30316 045B379A
	v_max3_f32 v23, |v156|, |v157|, v23                        // 0000000084D8: D1D30317 045F3B9C
	v_max3_f32 v23, |v158|, |v159|, v23                        // 0000000084E0: D1D30317 045F3F9E
	v_max3_f32 v22, |v160|, |v161|, v22                        // 0000000084E8: D1D30316 045B43A0
	v_max3_f32 v22, |v162|, |v163|, v22                        // 0000000084F0: D1D30316 045B47A2
	v_max3_f32 v23, |v164|, |v165|, v23                        // 0000000084F8: D1D30317 045F4BA4
	v_max3_f32 v23, |v166|, |v167|, v23                        // 000000008500: D1D30317 045F4FA6
	v_lshlrev_b32_e32 v50, 3, v0                               // 000000008508: 24640083
	s_mul_i32 s60, 0x200, s7                                   // 00000000850C: 923C07FF 00000200
	v_add_u32_e32 v50, s60, v50                                // 000000008514: 6864643C
	ds_write_b64 v50, v[22:23] offset:16640                    // 000000008518: D89A4100 00001632
	s_waitcnt lgkmcnt(0)                                       // 000000008520: BF8CC07F
	s_barrier                                                  // 000000008524: BF8A0000
	v_and_b32_e32 v50, 15, v0                                  // 000000008528: 2664008F
	v_lshlrev_b32_e32 v50, 3, v50                              // 00000000852C: 24646483
	ds_read_b64 v[96:97], v50 offset:16640                     // 000000008530: D8EC4100 60000032
	ds_read_b64 v[98:99], v50 offset:16768                     // 000000008538: D8EC4180 62000032
	ds_read_b64 v[100:101], v50 offset:16896                   // 000000008540: D8EC4200 64000032
	ds_read_b64 v[102:103], v50 offset:17024                   // 000000008548: D8EC4280 66000032
	ds_read_b64 v[104:105], v50 offset:17152                   // 000000008550: D8EC4300 68000032
	ds_read_b64 v[106:107], v50 offset:17280                   // 000000008558: D8EC4380 6A000032
	ds_read_b64 v[108:109], v50 offset:17408                   // 000000008560: D8EC4400 6C000032
	ds_read_b64 v[110:111], v50 offset:17536                   // 000000008568: D8EC4480 6E000032
	ds_read_b64 v[112:113], v50 offset:17664                   // 000000008570: D8EC4500 70000032
	ds_read_b64 v[114:115], v50 offset:17792                   // 000000008578: D8EC4580 72000032
	ds_read_b64 v[116:117], v50 offset:17920                   // 000000008580: D8EC4600 74000032
	ds_read_b64 v[118:119], v50 offset:18048                   // 000000008588: D8EC4680 76000032
	ds_read_b64 v[120:121], v50 offset:18176                   // 000000008590: D8EC4700 78000032
	ds_read_b64 v[122:123], v50 offset:18304                   // 000000008598: D8EC4780 7A000032
	ds_read_b64 v[124:125], v50 offset:18432                   // 0000000085A0: D8EC4800 7C000032
	ds_read_b64 v[126:127], v50 offset:18560                   // 0000000085A8: D8EC4880 7E000032
	s_waitcnt lgkmcnt(0)                                       // 0000000085B0: BF8CC07F
	v_max3_f32 v22, |v96|, |v98|, v22                          // 0000000085B4: D1D30316 045AC560
	v_max3_f32 v23, |v97|, |v99|, v23                          // 0000000085BC: D1D30317 045EC761
	v_max3_f32 v22, |v100|, |v102|, v22                        // 0000000085C4: D1D30316 045ACD64
	v_max3_f32 v23, |v101|, |v103|, v23                        // 0000000085CC: D1D30317 045ECF65
	v_max3_f32 v22, |v104|, |v106|, v22                        // 0000000085D4: D1D30316 045AD568
	v_max3_f32 v23, |v105|, |v107|, v23                        // 0000000085DC: D1D30317 045ED769
	v_max3_f32 v22, |v108|, |v110|, v22                        // 0000000085E4: D1D30316 045ADD6C
	v_max3_f32 v23, |v109|, |v111|, v23                        // 0000000085EC: D1D30317 045EDF6D
	v_max3_f32 v22, |v112|, |v114|, v22                        // 0000000085F4: D1D30316 045AE570
	v_max3_f32 v23, |v113|, |v115|, v23                        // 0000000085FC: D1D30317 045EE771
	v_max3_f32 v22, |v116|, |v118|, v22                        // 000000008604: D1D30316 045AED74
	v_max3_f32 v23, |v117|, |v119|, v23                        // 00000000860C: D1D30317 045EEF75
	v_max3_f32 v22, |v120|, |v122|, v22                        // 000000008614: D1D30316 045AF578
	v_max3_f32 v23, |v121|, |v123|, v23                        // 00000000861C: D1D30317 045EF779
	v_max3_f32 v22, |v124|, |v126|, v22                        // 000000008624: D1D30316 045AFD7C
	v_max3_f32 v23, |v125|, |v127|, v23                        // 00000000862C: D1D30317 045EFF7D
	v_rcp_f32_e32 v22, v22                                     // 000000008634: 7E2C4516
	v_rcp_f32_e32 v23, v23                                     // 000000008638: 7E2E4517
	v_mov_b32_e32 v50, 0x43e00000                              // 00000000863C: 7E6402FF 43E00000
	v_mul_f32_e32 v22, v50, v22                                // 000000008644: 0A2C2D32
	v_mul_f32_e32 v23, v50, v23                                // 000000008648: 0A2E2F32
	v_mul_f32_e32 v128, v22, v128                              // 00000000864C: 0B010116
	v_mul_f32_e32 v129, v22, v129                              // 000000008650: 0B030316
	v_mul_f32_e32 v130, v22, v130                              // 000000008654: 0B050516
	v_mul_f32_e32 v131, v22, v131                              // 000000008658: 0B070716
	v_cvt_pk_fp8_f32 v128, v128, v129                          // 00000000865C: D2A20080 00030380
	v_cvt_pk_fp8_f32 v128, v130, v131 op_sel:[0,0,1]           // 000000008664: D2A24080 00030782
	v_mul_f32_e32 v132, v23, v132                              // 00000000866C: 0B090917
	v_mul_f32_e32 v133, v23, v133                              // 000000008670: 0B0B0B17
	v_mul_f32_e32 v134, v23, v134                              // 000000008674: 0B0D0D17
	v_mul_f32_e32 v135, v23, v135                              // 000000008678: 0B0F0F17
	v_cvt_pk_fp8_f32 v129, v132, v133                          // 00000000867C: D2A20081 00030B84
	v_cvt_pk_fp8_f32 v129, v134, v135 op_sel:[0,0,1]           // 000000008684: D2A24081 00030F86
	v_mul_f32_e32 v136, v22, v136                              // 00000000868C: 0B111116
	v_mul_f32_e32 v137, v22, v137                              // 000000008690: 0B131316
	v_mul_f32_e32 v138, v22, v138                              // 000000008694: 0B151516
	v_mul_f32_e32 v139, v22, v139                              // 000000008698: 0B171716
	v_cvt_pk_fp8_f32 v130, v136, v137                          // 00000000869C: D2A20082 00031388
	v_cvt_pk_fp8_f32 v130, v138, v139 op_sel:[0,0,1]           // 0000000086A4: D2A24082 0003178A
	v_mul_f32_e32 v140, v23, v140                              // 0000000086AC: 0B191917
	v_mul_f32_e32 v141, v23, v141                              // 0000000086B0: 0B1B1B17
	v_mul_f32_e32 v142, v23, v142                              // 0000000086B4: 0B1D1D17
	v_mul_f32_e32 v143, v23, v143                              // 0000000086B8: 0B1F1F17
	v_cvt_pk_fp8_f32 v131, v140, v141                          // 0000000086BC: D2A20083 00031B8C
	v_cvt_pk_fp8_f32 v131, v142, v143 op_sel:[0,0,1]           // 0000000086C4: D2A24083 00031F8E
	v_mul_f32_e32 v144, v22, v144                              // 0000000086CC: 0B212116
	v_mul_f32_e32 v145, v22, v145                              // 0000000086D0: 0B232316
	v_mul_f32_e32 v146, v22, v146                              // 0000000086D4: 0B252516
	v_mul_f32_e32 v147, v22, v147                              // 0000000086D8: 0B272716
	v_cvt_pk_fp8_f32 v132, v144, v145                          // 0000000086DC: D2A20084 00032390
	v_cvt_pk_fp8_f32 v132, v146, v147 op_sel:[0,0,1]           // 0000000086E4: D2A24084 00032792
	v_mul_f32_e32 v148, v23, v148                              // 0000000086EC: 0B292917
	v_mul_f32_e32 v149, v23, v149                              // 0000000086F0: 0B2B2B17
	v_mul_f32_e32 v150, v23, v150                              // 0000000086F4: 0B2D2D17
	v_mul_f32_e32 v151, v23, v151                              // 0000000086F8: 0B2F2F17
	v_cvt_pk_fp8_f32 v133, v148, v149                          // 0000000086FC: D2A20085 00032B94
	v_cvt_pk_fp8_f32 v133, v150, v151 op_sel:[0,0,1]           // 000000008704: D2A24085 00032F96
	v_mul_f32_e32 v152, v22, v152                              // 00000000870C: 0B313116
	v_mul_f32_e32 v153, v22, v153                              // 000000008710: 0B333316
	v_mul_f32_e32 v154, v22, v154                              // 000000008714: 0B353516
	v_mul_f32_e32 v155, v22, v155                              // 000000008718: 0B373716
	v_cvt_pk_fp8_f32 v134, v152, v153                          // 00000000871C: D2A20086 00033398
	v_cvt_pk_fp8_f32 v134, v154, v155 op_sel:[0,0,1]           // 000000008724: D2A24086 0003379A
	v_mul_f32_e32 v156, v23, v156                              // 00000000872C: 0B393917
	v_mul_f32_e32 v157, v23, v157                              // 000000008730: 0B3B3B17
	v_mul_f32_e32 v158, v23, v158                              // 000000008734: 0B3D3D17
	v_mul_f32_e32 v159, v23, v159                              // 000000008738: 0B3F3F17
	v_cvt_pk_fp8_f32 v135, v156, v157                          // 00000000873C: D2A20087 00033B9C
	v_cvt_pk_fp8_f32 v135, v158, v159 op_sel:[0,0,1]           // 000000008744: D2A24087 00033F9E
	v_mul_f32_e32 v160, v22, v160                              // 00000000874C: 0B414116
	v_mul_f32_e32 v161, v22, v161                              // 000000008750: 0B434316
	v_mul_f32_e32 v162, v22, v162                              // 000000008754: 0B454516
	v_mul_f32_e32 v163, v22, v163                              // 000000008758: 0B474716
	v_cvt_pk_fp8_f32 v136, v160, v161                          // 00000000875C: D2A20088 000343A0
	v_cvt_pk_fp8_f32 v136, v162, v163 op_sel:[0,0,1]           // 000000008764: D2A24088 000347A2
	v_mul_f32_e32 v164, v23, v164                              // 00000000876C: 0B494917
	v_mul_f32_e32 v165, v23, v165                              // 000000008770: 0B4B4B17
	v_mul_f32_e32 v166, v23, v166                              // 000000008774: 0B4D4D17
	v_mul_f32_e32 v167, v23, v167                              // 000000008778: 0B4F4F17
	v_cvt_pk_fp8_f32 v137, v164, v165                          // 00000000877C: D2A20089 00034BA4
	v_cvt_pk_fp8_f32 v137, v166, v167 op_sel:[0,0,1]           // 000000008784: D2A24089 00034FA6
	v_rcp_f32_e32 v24, v22                                     // 00000000878C: 7E304516
	v_rcp_f32_e32 v25, v23                                     // 000000008790: 7E324517
	v_lshrrev_b32_e32 v50, 5, v0                               // 000000008794: 20640085
	v_lshlrev_b32_e32 v51, 5, v50                              // 000000008798: 24666485
	v_and_b32_e32 v50, 31, v0                                  // 00000000879C: 2664009F
	v_lshrrev_b32_e32 v52, 4, v50                              // 0000000087A0: 20686484
	v_add_u32_e32 v51, v52, v51                                // 0000000087A4: 68666734
	v_and_b32_e32 v50, 15, v0                                  // 0000000087A8: 2664008F
	v_lshlrev_b32_e32 v50, 1, v50                              // 0000000087AC: 24646481
	v_add_u32_e32 v51, v50, v51                                // 0000000087B0: 68666732
	v_lshlrev_b32_e32 v50, 2, v51                              // 0000000087B4: 24646682
	s_mul_i32 s60, 0x100, s7                                   // 0000000087B8: 923C07FF 00000100
	v_add_u32_e64 v50, v50, s60                                // 0000000087C0: D1340032 00007932
	ds_write_b32 v50, v128 offset:18688                        // 0000000087C8: D81A4900 00008032
	ds_write_b32 v50, v129 offset:23808                        // 0000000087D0: D81A5D00 00008132
	ds_write_b32 v50, v130 offset:19712                        // 0000000087D8: D81A4D00 00008232
	ds_write_b32 v50, v131 offset:24832                        // 0000000087E0: D81A6100 00008332
	ds_write_b32 v50, v132 offset:20736                        // 0000000087E8: D81A5100 00008432
	ds_write_b32 v50, v133 offset:25856                        // 0000000087F0: D81A6500 00008532
	ds_write_b32 v50, v134 offset:21760                        // 0000000087F8: D81A5500 00008632
	ds_write_b32 v50, v135 offset:26880                        // 000000008800: D81A6900 00008732
	ds_write_b32 v50, v136 offset:22784                        // 000000008808: D81A5900 00008832
	ds_write_b32 v50, v137 offset:27904                        // 000000008810: D81A6D00 00008932
	s_waitcnt lgkmcnt(0)                                       // 000000008818: BF8CC07F
	s_barrier                                                  // 00000000881C: BF8A0000
	v_lshrrev_b32_e32 v50, 4, v0                               // 000000008820: 20640084
	v_lshlrev_b32_e32 v51, 6, v50                              // 000000008824: 24666486
	v_and_b32_e32 v50, 15, v0                                  // 000000008828: 2664008F
	v_lshlrev_b32_e32 v50, 1, v50                              // 00000000882C: 24646481
	v_add_u32_e32 v51, v50, v51                                // 000000008830: 68666732
	v_lshlrev_b32_e32 v50, 2, v51                              // 000000008834: 24646682
	ds_read_b64 v[128:129], v50 offset:18688                   // 000000008838: D8EC4900 80000032
	ds_read_b64 v[130:131], v50 offset:18816                   // 000000008840: D8EC4980 82000032
	ds_read_b64 v[132:133], v50 offset:19712                   // 000000008848: D8EC4D00 84000032
	ds_read_b64 v[134:135], v50 offset:19840                   // 000000008850: D8EC4D80 86000032
	ds_read_b64 v[136:137], v50 offset:20736                   // 000000008858: D8EC5100 88000032
	ds_read_b64 v[138:139], v50 offset:20864                   // 000000008860: D8EC5180 8A000032
	ds_read_b64 v[140:141], v50 offset:21760                   // 000000008868: D8EC5500 8C000032
	ds_read_b64 v[142:143], v50 offset:21888                   // 000000008870: D8EC5580 8E000032
	ds_read_b64 v[144:145], v50 offset:22784                   // 000000008878: D8EC5900 90000032
	ds_read_b64 v[146:147], v50 offset:22912                   // 000000008880: D8EC5980 92000032
	ds_read_b64 v[148:149], v50 offset:23808                   // 000000008888: D8EC5D00 94000032
	ds_read_b64 v[150:151], v50 offset:23936                   // 000000008890: D8EC5D80 96000032
	ds_read_b64 v[152:153], v50 offset:24832                   // 000000008898: D8EC6100 98000032
	ds_read_b64 v[154:155], v50 offset:24960                   // 0000000088A0: D8EC6180 9A000032
	ds_read_b64 v[156:157], v50 offset:25856                   // 0000000088A8: D8EC6500 9C000032
	ds_read_b64 v[158:159], v50 offset:25984                   // 0000000088B0: D8EC6580 9E000032
	ds_read_b64 v[160:161], v50 offset:26880                   // 0000000088B8: D8EC6900 A0000032
	ds_read_b64 v[162:163], v50 offset:27008                   // 0000000088C0: D8EC6980 A2000032
	ds_read_b64 v[164:165], v50 offset:27904                   // 0000000088C8: D8EC6D00 A4000032
	ds_read_b64 v[166:167], v50 offset:28032                   // 0000000088D0: D8EC6D80 A6000032
	s_add_u32 s12, s56, s12                                    // 0000000088D8: 800C0C38
	s_addc_u32 s13, 0, s13                                     // 0000000088DC: 820D0D80
	s_add_u32 s16, s79, s16                                    // 0000000088E0: 8010104F
	s_addc_u32 s17, 0, s17                                     // 0000000088E4: 82111180
	s_waitcnt lgkmcnt(0)                                       // 0000000088E8: BF8CC07F
	s_barrier                                                  // 0000000088EC: BF8A0000
	v_mov_b32_e32 v168, 0                                      // 0000000088F0: 7F500280
	v_mov_b32_e32 v200, 0                                      // 0000000088F4: 7F900280
	v_mov_b32_e32 v169, 0                                      // 0000000088F8: 7F520280
	v_mov_b32_e32 v201, 0                                      // 0000000088FC: 7F920280
	v_mov_b32_e32 v170, 0                                      // 000000008900: 7F540280
	v_mov_b32_e32 v202, 0                                      // 000000008904: 7F940280
	v_mov_b32_e32 v171, 0                                      // 000000008908: 7F560280
	v_mov_b32_e32 v203, 0                                      // 00000000890C: 7F960280
	v_mov_b32_e32 v172, 0                                      // 000000008910: 7F580280
	v_mov_b32_e32 v204, 0                                      // 000000008914: 7F980280
	v_mov_b32_e32 v173, 0                                      // 000000008918: 7F5A0280
	v_mov_b32_e32 v205, 0                                      // 00000000891C: 7F9A0280
	v_mov_b32_e32 v174, 0                                      // 000000008920: 7F5C0280
	v_mov_b32_e32 v206, 0                                      // 000000008924: 7F9C0280
	v_mov_b32_e32 v175, 0                                      // 000000008928: 7F5E0280
	v_mov_b32_e32 v207, 0                                      // 00000000892C: 7F9E0280
	v_mov_b32_e32 v176, 0                                      // 000000008930: 7F600280
	v_mov_b32_e32 v208, 0                                      // 000000008934: 7FA00280
	v_mov_b32_e32 v177, 0                                      // 000000008938: 7F620280
	v_mov_b32_e32 v209, 0                                      // 00000000893C: 7FA20280
	v_mov_b32_e32 v178, 0                                      // 000000008940: 7F640280
	v_mov_b32_e32 v210, 0                                      // 000000008944: 7FA40280
	v_mov_b32_e32 v179, 0                                      // 000000008948: 7F660280
	v_mov_b32_e32 v211, 0                                      // 00000000894C: 7FA60280
	v_mov_b32_e32 v180, 0                                      // 000000008950: 7F680280
	v_mov_b32_e32 v212, 0                                      // 000000008954: 7FA80280
	v_mov_b32_e32 v181, 0                                      // 000000008958: 7F6A0280
	v_mov_b32_e32 v213, 0                                      // 00000000895C: 7FAA0280
	v_mov_b32_e32 v182, 0                                      // 000000008960: 7F6C0280
	v_mov_b32_e32 v214, 0                                      // 000000008964: 7FAC0280
	v_mov_b32_e32 v183, 0                                      // 000000008968: 7F6E0280
	v_mov_b32_e32 v215, 0                                      // 00000000896C: 7FAE0280
	ds_write_b64 v3, v[168:169] offset:18688                   // 000000008970: D89A4900 0000A803
	ds_write_b64 v3, v[170:171] offset:27392                   // 000000008978: D89A6B00 0000AA03
	ds_write_b64 v3, v[172:173] offset:20864                   // 000000008980: D89A5180 0000AC03
	ds_write_b64 v3, v[174:175] offset:29568                   // 000000008988: D89A7380 0000AE03
	ds_write_b64 v3, v[176:177] offset:23040                   // 000000008990: D89A5A00 0000B003
	ds_write_b64 v3, v[178:179] offset:31744                   // 000000008998: D89A7C00 0000B203
	ds_write_b64 v3, v[180:181] offset:25216                   // 0000000089A0: D89A6280 0000B403
	ds_write_b64 v3, v[182:183] offset:33920                   // 0000000089A8: D89A8480 0000B603
	s_mov_b32 s80, 0                                           // 0000000089B0: BED00080
	s_waitcnt vmcnt(0) expcnt(0) lgkmcnt(0)                    // 0000000089B4: BF8C0000

00000000000089b8 <label_16EE>:
	s_waitcnt vmcnt(17) lgkmcnt(0)                             // 0000000089B8: BF8C4071
	s_barrier                                                  // 0000000089BC: BF8A0000
	v_mfma_f32_16x16x32_fp8_fp8 v[168:171], a[0:1], v[128:129], 0// 0000000089C0: D3F300A8 0A030100
	buffer_load_dwordx4 a[80:83], v39, s[12:15], 0 offen       // 0000000089C8: E05C1000 80835027
	v_mfma_f32_16x16x32_fp8_fp8 v[168:171], a[2:3], v[130:131], v[168:171]// 0000000089D0: D3F300A8 0EA30502
	ds_read_b32 v64, v4 offset:18688                           // 0000000089D8: D86C4900 40000004
	ds_read_b32 v65, v4 offset:23040                           // 0000000089E0: D86C5A00 41000004
	v_mfma_f32_16x16x32_fp8_fp8 v[172:175], a[0:1], v[148:149], 0// 0000000089E8: D3F300AC 0A032900
	v_mfma_f32_16x16x32_fp8_fp8 v[172:175], a[2:3], v[150:151], v[172:175]// 0000000089F0: D3F300AC 0EB32D02
	ds_read_b32 v66, v4 offset:18720                           // 0000000089F8: D86C4920 42000004
	ds_read_b32 v67, v4 offset:23072                           // 000000008A00: D86C5A20 43000004
	v_mfma_f32_16x16x32_fp8_fp8 v[176:179], a[4:5], v[128:129], 0// 000000008A08: D3F300B0 0A030104
	buffer_load_dwordx4 a[84:87], v40, s[12:15], 0 offen       // 000000008A10: E05C1000 80835428
	v_mfma_f32_16x16x32_fp8_fp8 v[176:179], a[6:7], v[130:131], v[176:179]// 000000008A18: D3F300B0 0EC30506
	ds_read_b32 v68, v4 offset:18752                           // 000000008A20: D86C4940 44000004
	ds_read_b32 v69, v4 offset:23104                           // 000000008A28: D86C5A40 45000004
	v_mfma_f32_16x16x32_fp8_fp8 v[180:183], a[4:5], v[148:149], 0// 000000008A30: D3F300B4 0A032904
	v_mfma_f32_16x16x32_fp8_fp8 v[180:183], a[6:7], v[150:151], v[180:183]// 000000008A38: D3F300B4 0ED32D06
	ds_read_b32 v70, v4 offset:18784                           // 000000008A40: D86C4960 46000004
	ds_read_b32 v71, v4 offset:23136                           // 000000008A48: D86C5A60 47000004
	v_mfma_f32_16x16x32_fp8_fp8 v[184:187], a[8:9], v[128:129], 0// 000000008A50: D3F300B8 0A030108
	buffer_load_dwordx4 a[88:91], v41, s[12:15], 0 offen       // 000000008A58: E05C1000 80835829
	v_mfma_f32_16x16x32_fp8_fp8 v[184:187], a[10:11], v[130:131], v[184:187]// 000000008A60: D3F300B8 0EE3050A
	ds_read_b32 v72, v4 offset:27392                           // 000000008A68: D86C6B00 48000004
	ds_read_b32 v73, v4 offset:31744                           // 000000008A70: D86C7C00 49000004
	v_mfma_f32_16x16x32_fp8_fp8 v[188:191], a[8:9], v[148:149], 0// 000000008A78: D3F300BC 0A032908
	v_mfma_f32_16x16x32_fp8_fp8 v[188:191], a[10:11], v[150:151], v[188:191]// 000000008A80: D3F300BC 0EF32D0A
	ds_read_b32 v74, v4 offset:27424                           // 000000008A88: D86C6B20 4A000004
	ds_read_b32 v75, v4 offset:31776                           // 000000008A90: D86C7C20 4B000004
	v_mfma_f32_16x16x32_fp8_fp8 v[192:195], a[12:13], v[128:129], 0// 000000008A98: D3F300C0 0A03010C
	buffer_load_dwordx4 a[92:95], v42, s[12:15], 0 offen       // 000000008AA0: E05C1000 80835C2A
	s_add_u32 s12, s78, s12                                    // 000000008AA8: 800C0C4E
	s_addc_u32 s13, 0, s13                                     // 000000008AAC: 820D0D80
	v_mfma_f32_16x16x32_fp8_fp8 v[192:195], a[14:15], v[130:131], v[192:195]// 000000008AB0: D3F300C0 0F03050E
	ds_read_b32 v76, v4 offset:27456                           // 000000008AB8: D86C6B40 4C000004
	ds_read_b32 v77, v4 offset:31808                           // 000000008AC0: D86C7C40 4D000004
	v_mfma_f32_16x16x32_fp8_fp8 v[196:199], a[12:13], v[148:149], 0// 000000008AC8: D3F300C4 0A03290C
	v_mfma_f32_16x16x32_fp8_fp8 v[196:199], a[14:15], v[150:151], v[196:199]// 000000008AD0: D3F300C4 0F132D0E
	ds_read_b32 v78, v4 offset:27488                           // 000000008AD8: D86C6B60 4E000004
	ds_read_b32 v79, v4 offset:31840                           // 000000008AE0: D86C7C60 4F000004
	s_waitcnt vmcnt(17)                                        // 000000008AE8: BF8C4F71
	v_mfma_f32_16x16x32_fp8_fp8 v[168:171], a[16:17], v[132:133], v[168:171]// 000000008AEC: D3F300A8 0EA30910
	buffer_load_dwordx4 a[96:99], v39, s[12:15], 0 offen       // 000000008AF4: E05C1000 80836027
	v_mfma_f32_16x16x32_fp8_fp8 v[168:171], a[18:19], v[134:135], v[168:171]// 000000008AFC: D3F300A8 0EA30D12
	v_mfma_f32_16x16x32_fp8_fp8 v[172:175], a[16:17], v[152:153], v[172:175]// 000000008B04: D3F300AC 0EB33110
	v_mfma_f32_16x16x32_fp8_fp8 v[172:175], a[18:19], v[154:155], v[172:175]// 000000008B0C: D3F300AC 0EB33512
	v_mfma_f32_16x16x32_fp8_fp8 v[176:179], a[20:21], v[132:133], v[176:179]// 000000008B14: D3F300B0 0EC30914
	buffer_load_dwordx4 a[100:103], v40, s[12:15], 0 offen     // 000000008B1C: E05C1000 80836428
	v_mfma_f32_16x16x32_fp8_fp8 v[176:179], a[22:23], v[134:135], v[176:179]// 000000008B24: D3F300B0 0EC30D16
	v_mfma_f32_16x16x32_fp8_fp8 v[180:183], a[20:21], v[152:153], v[180:183]// 000000008B2C: D3F300B4 0ED33114
	v_mfma_f32_16x16x32_fp8_fp8 v[180:183], a[22:23], v[154:155], v[180:183]// 000000008B34: D3F300B4 0ED33516
	v_mfma_f32_16x16x32_fp8_fp8 v[184:187], a[24:25], v[132:133], v[184:187]// 000000008B3C: D3F300B8 0EE30918
	buffer_load_dwordx4 a[104:107], v41, s[12:15], 0 offen     // 000000008B44: E05C1000 80836829
	v_mfma_f32_16x16x32_fp8_fp8 v[184:187], a[26:27], v[134:135], v[184:187]// 000000008B4C: D3F300B8 0EE30D1A
	v_mfma_f32_16x16x32_fp8_fp8 v[188:191], a[24:25], v[152:153], v[188:191]// 000000008B54: D3F300BC 0EF33118
	v_mfma_f32_16x16x32_fp8_fp8 v[188:191], a[26:27], v[154:155], v[188:191]// 000000008B5C: D3F300BC 0EF3351A
	v_mfma_f32_16x16x32_fp8_fp8 v[192:195], a[28:29], v[132:133], v[192:195]// 000000008B64: D3F300C0 0F03091C
	buffer_load_dwordx4 a[108:111], v42, s[12:15], 0 offen     // 000000008B6C: E05C1000 80836C2A
	s_add_u32 s12, s78, s12                                    // 000000008B74: 800C0C4E
	s_addc_u32 s13, 0, s13                                     // 000000008B78: 820D0D80
	v_mfma_f32_16x16x32_fp8_fp8 v[192:195], a[30:31], v[134:135], v[192:195]// 000000008B7C: D3F300C0 0F030D1E
	v_mfma_f32_16x16x32_fp8_fp8 v[196:199], a[28:29], v[152:153], v[196:199]// 000000008B84: D3F300C4 0F13311C
	v_mfma_f32_16x16x32_fp8_fp8 v[196:199], a[30:31], v[154:155], v[196:199]// 000000008B8C: D3F300C4 0F13351E
	s_waitcnt vmcnt(17)                                        // 000000008B94: BF8C4F71
	v_mfma_f32_16x16x32_fp8_fp8 v[168:171], a[32:33], v[136:137], v[168:171]// 000000008B98: D3F300A8 0EA31120
	buffer_load_dwordx4 a[112:115], v39, s[12:15], 0 offen     // 000000008BA0: E05C1000 80837027
	v_mfma_f32_16x16x32_fp8_fp8 v[168:171], a[34:35], v[138:139], v[168:171]// 000000008BA8: D3F300A8 0EA31522
	ds_write_b64 v3, v[200:201] offset:36096                   // 000000008BB0: D89A8D00 0000C803
	v_mfma_f32_16x16x32_fp8_fp8 v[172:175], a[32:33], v[156:157], v[172:175]// 000000008BB8: D3F300AC 0EB33920
	v_mfma_f32_16x16x32_fp8_fp8 v[172:175], a[34:35], v[158:159], v[172:175]// 000000008BC0: D3F300AC 0EB33D22
	ds_write_b64 v3, v[202:203] offset:44800                   // 000000008BC8: D89AAF00 0000CA03
	v_mfma_f32_16x16x32_fp8_fp8 v[176:179], a[36:37], v[136:137], v[176:179]// 000000008BD0: D3F300B0 0EC31124
	buffer_load_dwordx4 a[116:119], v40, s[12:15], 0 offen     // 000000008BD8: E05C1000 80837428
	v_mfma_f32_16x16x32_fp8_fp8 v[176:179], a[38:39], v[138:139], v[176:179]// 000000008BE0: D3F300B0 0EC31526
	ds_write_b64 v3, v[204:205] offset:38272                   // 000000008BE8: D89A9580 0000CC03
	v_mfma_f32_16x16x32_fp8_fp8 v[180:183], a[36:37], v[156:157], v[180:183]// 000000008BF0: D3F300B4 0ED33924
	v_mfma_f32_16x16x32_fp8_fp8 v[180:183], a[38:39], v[158:159], v[180:183]// 000000008BF8: D3F300B4 0ED33D26
	ds_write_b64 v3, v[206:207] offset:46976                   // 000000008C00: D89AB780 0000CE03
	v_mfma_f32_16x16x32_fp8_fp8 v[184:187], a[40:41], v[136:137], v[184:187]// 000000008C08: D3F300B8 0EE31128
	buffer_load_dwordx4 a[120:123], v41, s[12:15], 0 offen     // 000000008C10: E05C1000 80837829
	v_mfma_f32_16x16x32_fp8_fp8 v[184:187], a[42:43], v[138:139], v[184:187]// 000000008C18: D3F300B8 0EE3152A
	ds_write_b64 v3, v[208:209] offset:40448                   // 000000008C20: D89A9E00 0000D003
	v_mfma_f32_16x16x32_fp8_fp8 v[188:191], a[40:41], v[156:157], v[188:191]// 000000008C28: D3F300BC 0EF33928
	v_mfma_f32_16x16x32_fp8_fp8 v[188:191], a[42:43], v[158:159], v[188:191]// 000000008C30: D3F300BC 0EF33D2A
	ds_write_b64 v3, v[210:211] offset:49152                   // 000000008C38: D89AC000 0000D203
	v_mfma_f32_16x16x32_fp8_fp8 v[192:195], a[44:45], v[136:137], v[192:195]// 000000008C40: D3F300C0 0F03112C
	buffer_load_dwordx4 a[124:127], v42, s[12:15], 0 offen     // 000000008C48: E05C1000 80837C2A
	s_add_u32 s12, s78, s12                                    // 000000008C50: 800C0C4E
	s_addc_u32 s13, 0, s13                                     // 000000008C54: 820D0D80
	v_mfma_f32_16x16x32_fp8_fp8 v[192:195], a[46:47], v[138:139], v[192:195]// 000000008C58: D3F300C0 0F03152E
	ds_write_b64 v3, v[212:213] offset:42624                   // 000000008C60: D89AA680 0000D403
	v_mfma_f32_16x16x32_fp8_fp8 v[196:199], a[44:45], v[156:157], v[196:199]// 000000008C68: D3F300C4 0F13392C
	v_mfma_f32_16x16x32_fp8_fp8 v[196:199], a[46:47], v[158:159], v[196:199]// 000000008C70: D3F300C4 0F133D2E
	ds_write_b64 v3, v[214:215] offset:51328                   // 000000008C78: D89AC880 0000D603
	s_waitcnt vmcnt(17)                                        // 000000008C80: BF8C4F71
	v_mfma_f32_16x16x32_fp8_fp8 v[168:171], a[48:49], v[140:141], v[168:171]// 000000008C84: D3F300A8 0EA31930
	buffer_load_dwordx4 a[128:131], v39, s[12:15], 0 offen     // 000000008C8C: E05C1000 80838027
	v_mfma_f32_16x16x32_fp8_fp8 v[168:171], a[50:51], v[142:143], v[168:171]// 000000008C94: D3F300A8 0EA31D32
	v_mfma_f32_16x16x32_fp8_fp8 v[172:175], a[48:49], v[160:161], v[172:175]// 000000008C9C: D3F300AC 0EB34130
	v_mfma_f32_16x16x32_fp8_fp8 v[172:175], a[50:51], v[162:163], v[172:175]// 000000008CA4: D3F300AC 0EB34532
	v_mfma_f32_16x16x32_fp8_fp8 v[176:179], a[52:53], v[140:141], v[176:179]// 000000008CAC: D3F300B0 0EC31934
	buffer_load_dwordx4 a[132:135], v40, s[12:15], 0 offen     // 000000008CB4: E05C1000 80838428
	v_mfma_f32_16x16x32_fp8_fp8 v[176:179], a[54:55], v[142:143], v[176:179]// 000000008CBC: D3F300B0 0EC31D36
	v_mfma_f32_16x16x32_fp8_fp8 v[180:183], a[52:53], v[160:161], v[180:183]// 000000008CC4: D3F300B4 0ED34134
	v_mfma_f32_16x16x32_fp8_fp8 v[180:183], a[54:55], v[162:163], v[180:183]// 000000008CCC: D3F300B4 0ED34536
	v_mfma_f32_16x16x32_fp8_fp8 v[184:187], a[56:57], v[140:141], v[184:187]// 000000008CD4: D3F300B8 0EE31938
	buffer_load_dwordx4 a[136:139], v41, s[12:15], 0 offen     // 000000008CDC: E05C1000 80838829
	v_mfma_f32_16x16x32_fp8_fp8 v[184:187], a[58:59], v[142:143], v[184:187]// 000000008CE4: D3F300B8 0EE31D3A
	v_mfma_f32_16x16x32_fp8_fp8 v[188:191], a[56:57], v[160:161], v[188:191]// 000000008CEC: D3F300BC 0EF34138
	v_mfma_f32_16x16x32_fp8_fp8 v[188:191], a[58:59], v[162:163], v[188:191]// 000000008CF4: D3F300BC 0EF3453A
	v_mfma_f32_16x16x32_fp8_fp8 v[192:195], a[60:61], v[140:141], v[192:195]// 000000008CFC: D3F300C0 0F03193C
	buffer_load_dwordx4 a[140:143], v42, s[12:15], 0 offen     // 000000008D04: E05C1000 80838C2A
	s_add_u32 s12, s78, s12                                    // 000000008D0C: 800C0C4E
	s_addc_u32 s13, 0, s13                                     // 000000008D10: 820D0D80
	v_mfma_f32_16x16x32_fp8_fp8 v[192:195], a[62:63], v[142:143], v[192:195]// 000000008D14: D3F300C0 0F031D3E
	v_mfma_f32_16x16x32_fp8_fp8 v[196:199], a[60:61], v[160:161], v[196:199]// 000000008D1C: D3F300C4 0F13413C
	v_mfma_f32_16x16x32_fp8_fp8 v[196:199], a[62:63], v[162:163], v[196:199]// 000000008D24: D3F300C4 0F13453E
	s_waitcnt vmcnt(16)                                        // 000000008D2C: BF8C4F70
	v_mfma_f32_16x16x32_fp8_fp8 v[168:171], a[64:65], v[144:145], v[168:171]// 000000008D30: D3F300A8 0EA32140
	buffer_load_dwordx4 a[144:147], v39, s[12:15], 0 offen     // 000000008D38: E05C1000 80839027
	v_mfma_f32_16x16x32_fp8_fp8 v[168:171], a[66:67], v[146:147], v[168:171]// 000000008D40: D3F300A8 0EA32542
	v_mfma_f32_16x16x32_fp8_fp8 v[172:175], a[64:65], v[164:165], v[172:175]// 000000008D48: D3F300AC 0EB34940
	buffer_load_dword v13, v5, s[16:19], 0 offen               // 000000008D50: E0501000 80040D05
	v_mfma_f32_16x16x32_fp8_fp8 v[172:175], a[66:67], v[166:167], v[172:175]// 000000008D58: D3F300AC 0EB34D42
	v_mfma_f32_16x16x32_fp8_fp8 v[176:179], a[68:69], v[144:145], v[176:179]// 000000008D60: D3F300B0 0EC32144
	buffer_load_dwordx4 a[148:151], v40, s[12:15], 0 offen     // 000000008D68: E05C1000 80839428
	v_mfma_f32_16x16x32_fp8_fp8 v[176:179], a[70:71], v[146:147], v[176:179]// 000000008D70: D3F300B0 0EC32546
	v_mfma_f32_16x16x32_fp8_fp8 v[180:183], a[68:69], v[164:165], v[180:183]// 000000008D78: D3F300B4 0ED34944
	v_mfma_f32_16x16x32_fp8_fp8 v[180:183], a[70:71], v[166:167], v[180:183]// 000000008D80: D3F300B4 0ED34D46
	v_mfma_f32_16x16x32_fp8_fp8 v[184:187], a[72:73], v[144:145], v[184:187]// 000000008D88: D3F300B8 0EE32148
	buffer_load_dwordx4 a[152:155], v41, s[12:15], 0 offen     // 000000008D90: E05C1000 80839829
	v_mfma_f32_16x16x32_fp8_fp8 v[184:187], a[74:75], v[146:147], v[184:187]// 000000008D98: D3F300B8 0EE3254A
	v_mfma_f32_16x16x32_fp8_fp8 v[188:191], a[72:73], v[164:165], v[188:191]// 000000008DA0: D3F300BC 0EF34948
	v_mfma_f32_16x16x32_fp8_fp8 v[188:191], a[74:75], v[166:167], v[188:191]// 000000008DA8: D3F300BC 0EF34D4A
	v_mfma_f32_16x16x32_fp8_fp8 v[192:195], a[76:77], v[144:145], v[192:195]// 000000008DB0: D3F300C0 0F03214C
	buffer_load_dwordx4 a[156:159], v42, s[12:15], 0 offen     // 000000008DB8: E05C1000 80839C2A
	v_mfma_f32_16x16x32_fp8_fp8 v[192:195], a[78:79], v[146:147], v[192:195]// 000000008DC0: D3F300C0 0F03254E
	v_mfma_f32_16x16x32_fp8_fp8 v[196:199], a[76:77], v[164:165], v[196:199]// 000000008DC8: D3F300C4 0F13494C
	v_mfma_f32_16x16x32_fp8_fp8 v[196:199], a[78:79], v[166:167], v[196:199]// 000000008DD0: D3F300C4 0F134D4E
	s_add_u32 s60, 0x200, s80                                  // 000000008DD8: 803C50FF 00000200
	s_cmp_lt_u32 s60, s81                                      // 000000008DE0: BF0A513C
	s_cselect_b32 s56, s56, 0                                  // 000000008DE4: 85388038
	s_cselect_b32 s78, s78, 0                                  // 000000008DE8: 854E804E
	s_cselect_b32 s79, s79, 0                                  // 000000008DEC: 854F804F
	s_add_u32 s12, s56, s12                                    // 000000008DF0: 800C0C38
	s_addc_u32 s13, 0, s13                                     // 000000008DF4: 820D0D80
	s_add_u32 s16, s79, s16                                    // 000000008DF8: 8010104F
	s_addc_u32 s17, 0, s17                                     // 000000008DFC: 82111180
	v_mul_f32_e32 v168, v24, v168                              // 000000008E00: 0B515118
	v_mul_f32_e32 v169, v24, v169                              // 000000008E04: 0B535318
	v_mul_f32_e32 v170, v24, v170                              // 000000008E08: 0B555518
	v_mul_f32_e32 v171, v24, v171                              // 000000008E0C: 0B575718
	v_mul_f32_dpp v168, v12, v168 row_newbcast:0 row_mask:0xf bank_mask:0xf// 000000008E10: 0B5150FA FF01500C
	v_mul_f32_dpp v169, v12, v169 row_newbcast:1 row_mask:0xf bank_mask:0xf// 000000008E18: 0B5352FA FF01510C
	v_mul_f32_dpp v170, v12, v170 row_newbcast:2 row_mask:0xf bank_mask:0xf// 000000008E20: 0B5554FA FF01520C
	v_mul_f32_dpp v171, v12, v171 row_newbcast:3 row_mask:0xf bank_mask:0xf// 000000008E28: 0B5756FA FF01530C
	v_mul_f32_e32 v168, v20, v168                              // 000000008E30: 0B515114
	v_mul_f32_e32 v169, v20, v169                              // 000000008E34: 0B535314
	v_mul_f32_e32 v170, v20, v170                              // 000000008E38: 0B555514
	v_mul_f32_e32 v171, v20, v171                              // 000000008E3C: 0B575714
	v_mul_f32_e32 v172, v25, v172                              // 000000008E40: 0B595919
	v_mul_f32_e32 v173, v25, v173                              // 000000008E44: 0B5B5B19
	v_mul_f32_e32 v174, v25, v174                              // 000000008E48: 0B5D5D19
	v_mul_f32_e32 v175, v25, v175                              // 000000008E4C: 0B5F5F19
	v_mul_f32_dpp v172, v12, v172 row_newbcast:0 row_mask:0xf bank_mask:0xf// 000000008E50: 0B5958FA FF01500C
	v_mul_f32_dpp v173, v12, v173 row_newbcast:1 row_mask:0xf bank_mask:0xf// 000000008E58: 0B5B5AFA FF01510C
	v_mul_f32_dpp v174, v12, v174 row_newbcast:2 row_mask:0xf bank_mask:0xf// 000000008E60: 0B5D5CFA FF01520C
	v_mul_f32_dpp v175, v12, v175 row_newbcast:3 row_mask:0xf bank_mask:0xf// 000000008E68: 0B5F5EFA FF01530C
	v_mul_f32_e32 v172, v21, v172                              // 000000008E70: 0B595915
	v_mul_f32_e32 v173, v21, v173                              // 000000008E74: 0B5B5B15
	v_mul_f32_e32 v174, v21, v174                              // 000000008E78: 0B5D5D15
	v_mul_f32_e32 v175, v21, v175                              // 000000008E7C: 0B5F5F15
	v_mul_f32_e32 v176, v24, v176                              // 000000008E80: 0B616118
	v_mul_f32_e32 v177, v24, v177                              // 000000008E84: 0B636318
	v_mul_f32_e32 v178, v24, v178                              // 000000008E88: 0B656518
	v_mul_f32_e32 v179, v24, v179                              // 000000008E8C: 0B676718
	v_mul_f32_dpp v176, v12, v176 row_newbcast:4 row_mask:0xf bank_mask:0xf// 000000008E90: 0B6160FA FF01540C
	v_mul_f32_dpp v177, v12, v177 row_newbcast:5 row_mask:0xf bank_mask:0xf// 000000008E98: 0B6362FA FF01550C
	v_mul_f32_dpp v178, v12, v178 row_newbcast:6 row_mask:0xf bank_mask:0xf// 000000008EA0: 0B6564FA FF01560C
	v_mul_f32_dpp v179, v12, v179 row_newbcast:7 row_mask:0xf bank_mask:0xf// 000000008EA8: 0B6766FA FF01570C
	v_mul_f32_e32 v176, v20, v176                              // 000000008EB0: 0B616114
	v_mul_f32_e32 v177, v20, v177                              // 000000008EB4: 0B636314
	v_mul_f32_e32 v178, v20, v178                              // 000000008EB8: 0B656514
	v_mul_f32_e32 v179, v20, v179                              // 000000008EBC: 0B676714
	v_mul_f32_e32 v180, v25, v180                              // 000000008EC0: 0B696919
	v_mul_f32_e32 v181, v25, v181                              // 000000008EC4: 0B6B6B19
	v_mul_f32_e32 v182, v25, v182                              // 000000008EC8: 0B6D6D19
	v_mul_f32_e32 v183, v25, v183                              // 000000008ECC: 0B6F6F19
	v_mul_f32_dpp v180, v12, v180 row_newbcast:4 row_mask:0xf bank_mask:0xf// 000000008ED0: 0B6968FA FF01540C
	v_mul_f32_dpp v181, v12, v181 row_newbcast:5 row_mask:0xf bank_mask:0xf// 000000008ED8: 0B6B6AFA FF01550C
	v_mul_f32_dpp v182, v12, v182 row_newbcast:6 row_mask:0xf bank_mask:0xf// 000000008EE0: 0B6D6CFA FF01560C
	v_mul_f32_dpp v183, v12, v183 row_newbcast:7 row_mask:0xf bank_mask:0xf// 000000008EE8: 0B6F6EFA FF01570C
	v_mul_f32_e32 v180, v21, v180                              // 000000008EF0: 0B696915
	v_mul_f32_e32 v181, v21, v181                              // 000000008EF4: 0B6B6B15
	v_mul_f32_e32 v182, v21, v182                              // 000000008EF8: 0B6D6D15
	v_mul_f32_e32 v183, v21, v183                              // 000000008EFC: 0B6F6F15
	v_mul_f32_e32 v184, v24, v184                              // 000000008F00: 0B717118
	v_mul_f32_e32 v185, v24, v185                              // 000000008F04: 0B737318
	v_mul_f32_e32 v186, v24, v186                              // 000000008F08: 0B757518
	v_mul_f32_e32 v187, v24, v187                              // 000000008F0C: 0B777718
	v_mul_f32_dpp v184, v12, v184 row_newbcast:8 row_mask:0xf bank_mask:0xf// 000000008F10: 0B7170FA FF01580C
	v_mul_f32_dpp v185, v12, v185 row_newbcast:9 row_mask:0xf bank_mask:0xf// 000000008F18: 0B7372FA FF01590C
	v_mul_f32_dpp v186, v12, v186 row_newbcast:10 row_mask:0xf bank_mask:0xf// 000000008F20: 0B7574FA FF015A0C
	v_mul_f32_dpp v187, v12, v187 row_newbcast:11 row_mask:0xf bank_mask:0xf// 000000008F28: 0B7776FA FF015B0C
	v_mul_f32_e32 v184, v20, v184                              // 000000008F30: 0B717114
	v_mul_f32_e32 v185, v20, v185                              // 000000008F34: 0B737314
	v_mul_f32_e32 v186, v20, v186                              // 000000008F38: 0B757514
	v_mul_f32_e32 v187, v20, v187                              // 000000008F3C: 0B777714
	v_mul_f32_e32 v188, v25, v188                              // 000000008F40: 0B797919
	v_mul_f32_e32 v189, v25, v189                              // 000000008F44: 0B7B7B19
	v_mul_f32_e32 v190, v25, v190                              // 000000008F48: 0B7D7D19
	v_mul_f32_e32 v191, v25, v191                              // 000000008F4C: 0B7F7F19
	v_mul_f32_dpp v188, v12, v188 row_newbcast:8 row_mask:0xf bank_mask:0xf// 000000008F50: 0B7978FA FF01580C
	v_mul_f32_dpp v189, v12, v189 row_newbcast:9 row_mask:0xf bank_mask:0xf// 000000008F58: 0B7B7AFA FF01590C
	v_mul_f32_dpp v190, v12, v190 row_newbcast:10 row_mask:0xf bank_mask:0xf// 000000008F60: 0B7D7CFA FF015A0C
	v_mul_f32_dpp v191, v12, v191 row_newbcast:11 row_mask:0xf bank_mask:0xf// 000000008F68: 0B7F7EFA FF015B0C
	v_mul_f32_e32 v188, v21, v188                              // 000000008F70: 0B797915
	v_mul_f32_e32 v189, v21, v189                              // 000000008F74: 0B7B7B15
	v_mul_f32_e32 v190, v21, v190                              // 000000008F78: 0B7D7D15
	v_mul_f32_e32 v191, v21, v191                              // 000000008F7C: 0B7F7F15
	v_mul_f32_e32 v192, v24, v192                              // 000000008F80: 0B818118
	v_mul_f32_e32 v193, v24, v193                              // 000000008F84: 0B838318
	v_mul_f32_e32 v194, v24, v194                              // 000000008F88: 0B858518
	v_mul_f32_e32 v195, v24, v195                              // 000000008F8C: 0B878718
	v_mul_f32_dpp v192, v12, v192 row_newbcast:12 row_mask:0xf bank_mask:0xf// 000000008F90: 0B8180FA FF015C0C
	v_mul_f32_dpp v193, v12, v193 row_newbcast:13 row_mask:0xf bank_mask:0xf// 000000008F98: 0B8382FA FF015D0C
	v_mul_f32_dpp v194, v12, v194 row_newbcast:14 row_mask:0xf bank_mask:0xf// 000000008FA0: 0B8584FA FF015E0C
	v_mul_f32_dpp v195, v12, v195 row_newbcast:15 row_mask:0xf bank_mask:0xf// 000000008FA8: 0B8786FA FF015F0C
	v_mul_f32_e32 v192, v20, v192                              // 000000008FB0: 0B818114
	v_mul_f32_e32 v193, v20, v193                              // 000000008FB4: 0B838314
	v_mul_f32_e32 v194, v20, v194                              // 000000008FB8: 0B858514
	v_mul_f32_e32 v195, v20, v195                              // 000000008FBC: 0B878714
	v_mul_f32_e32 v196, v25, v196                              // 000000008FC0: 0B898919
	v_mul_f32_e32 v197, v25, v197                              // 000000008FC4: 0B8B8B19
	v_mul_f32_e32 v198, v25, v198                              // 000000008FC8: 0B8D8D19
	v_mul_f32_e32 v199, v25, v199                              // 000000008FCC: 0B8F8F19
	v_mul_f32_dpp v196, v12, v196 row_newbcast:12 row_mask:0xf bank_mask:0xf// 000000008FD0: 0B8988FA FF015C0C
	v_mul_f32_dpp v197, v12, v197 row_newbcast:13 row_mask:0xf bank_mask:0xf// 000000008FD8: 0B8B8AFA FF015D0C
	v_mul_f32_dpp v198, v12, v198 row_newbcast:14 row_mask:0xf bank_mask:0xf// 000000008FE0: 0B8D8CFA FF015E0C
	v_mul_f32_dpp v199, v12, v199 row_newbcast:15 row_mask:0xf bank_mask:0xf// 000000008FE8: 0B8F8EFA FF015F0C
	v_mul_f32_e32 v196, v21, v196                              // 000000008FF0: 0B898915
	v_mul_f32_e32 v197, v21, v197                              // 000000008FF4: 0B8B8B15
	v_mul_f32_e32 v198, v21, v198                              // 000000008FF8: 0B8D8D15
	v_mul_f32_e32 v199, v21, v199                              // 000000008FFC: 0B8F8F15
	v_cvt_pkrtz_f16_f32 v168, v168, v169                       // 000000009000: D29600A8 000353A8
	v_cvt_pkrtz_f16_f32 v169, v170, v171                       // 000000009008: D29600A9 000357AA
	v_cvt_pkrtz_f16_f32 v170, v172, v173                       // 000000009010: D29600AA 00035BAC
	v_cvt_pkrtz_f16_f32 v171, v174, v175                       // 000000009018: D29600AB 00035FAE
	v_cvt_pkrtz_f16_f32 v172, v176, v177                       // 000000009020: D29600AC 000363B0
	v_cvt_pkrtz_f16_f32 v173, v178, v179                       // 000000009028: D29600AD 000367B2
	v_cvt_pkrtz_f16_f32 v174, v180, v181                       // 000000009030: D29600AE 00036BB4
	v_cvt_pkrtz_f16_f32 v175, v182, v183                       // 000000009038: D29600AF 00036FB6
	v_cvt_pkrtz_f16_f32 v176, v184, v185                       // 000000009040: D29600B0 000373B8
	v_cvt_pkrtz_f16_f32 v177, v186, v187                       // 000000009048: D29600B1 000377BA
	v_cvt_pkrtz_f16_f32 v178, v188, v189                       // 000000009050: D29600B2 00037BBC
	v_cvt_pkrtz_f16_f32 v179, v190, v191                       // 000000009058: D29600B3 00037FBE
	v_cvt_pkrtz_f16_f32 v180, v192, v193                       // 000000009060: D29600B4 000383C0
	v_cvt_pkrtz_f16_f32 v181, v194, v195                       // 000000009068: D29600B5 000387C2
	v_cvt_pkrtz_f16_f32 v182, v196, v197                       // 000000009070: D29600B6 00038BC4
	v_cvt_pkrtz_f16_f32 v183, v198, v199                       // 000000009078: D29600B7 00038FC6
	s_cmp_ge_u32 s80, 0x200                                    // 000000009080: BF09FF50 00000200
	s_cselect_b32 s59, 0x200, s59                              // 000000009088: 853B3BFF 00000200
	s_setvskip s20, 0                                          // 000000009090: BF108014
	global_atomic_pk_add_f16 v80, v64, s[8:9]                  // 000000009094: DD388000 00084050
	s_setvskip 0, 0                                            // 00000000909C: BF108080
	s_setvskip s20, 0                                          // 0000000090A0: BF108014
	global_atomic_pk_add_f16 v80, v65, s[8:9] offset:256       // 0000000090A4: DD388100 00084150
	s_setvskip 0, 0                                            // 0000000090AC: BF108080
	s_setvskip s20, 1                                          // 0000000090B0: BF108114
	global_atomic_pk_add_f16 v82, v66, s[8:9]                  // 0000000090B4: DD388000 00084252
	s_setvskip 0, 0                                            // 0000000090BC: BF108080
	s_setvskip s20, 1                                          // 0000000090C0: BF108114
	global_atomic_pk_add_f16 v82, v67, s[8:9] offset:256       // 0000000090C4: DD388100 00084352
	s_setvskip 0, 0                                            // 0000000090CC: BF108080
	s_setvskip s20, 2                                          // 0000000090D0: BF108214
	global_atomic_pk_add_f16 v84, v68, s[8:9]                  // 0000000090D4: DD388000 00084454
	s_setvskip 0, 0                                            // 0000000090DC: BF108080
	s_setvskip s20, 2                                          // 0000000090E0: BF108214
	global_atomic_pk_add_f16 v84, v69, s[8:9] offset:256       // 0000000090E4: DD388100 00084554
	s_setvskip 0, 0                                            // 0000000090EC: BF108080
	s_setvskip s20, 3                                          // 0000000090F0: BF108314
	global_atomic_pk_add_f16 v86, v70, s[8:9]                  // 0000000090F4: DD388000 00084656
	s_setvskip 0, 0                                            // 0000000090FC: BF108080
	s_setvskip s20, 3                                          // 000000009100: BF108314
	global_atomic_pk_add_f16 v86, v71, s[8:9] offset:256       // 000000009104: DD388100 00084756
	s_setvskip 0, 0                                            // 00000000910C: BF108080
	s_setvskip s20, 4                                          // 000000009110: BF108414
	global_atomic_pk_add_f16 v88, v72, s[8:9]                  // 000000009114: DD388000 00084858
	s_setvskip 0, 0                                            // 00000000911C: BF108080
	s_setvskip s20, 4                                          // 000000009120: BF108414
	global_atomic_pk_add_f16 v88, v73, s[8:9] offset:256       // 000000009124: DD388100 00084958
	s_setvskip 0, 0                                            // 00000000912C: BF108080
	s_setvskip s20, 5                                          // 000000009130: BF108514
	global_atomic_pk_add_f16 v90, v74, s[8:9]                  // 000000009134: DD388000 00084A5A
	s_setvskip 0, 0                                            // 00000000913C: BF108080
	s_setvskip s20, 5                                          // 000000009140: BF108514
	global_atomic_pk_add_f16 v90, v75, s[8:9] offset:256       // 000000009144: DD388100 00084B5A
	s_setvskip 0, 0                                            // 00000000914C: BF108080
	s_setvskip s20, 6                                          // 000000009150: BF108614
	global_atomic_pk_add_f16 v92, v76, s[8:9]                  // 000000009154: DD388000 00084C5C
	s_setvskip 0, 0                                            // 00000000915C: BF108080
	s_setvskip s20, 6                                          // 000000009160: BF108614
	global_atomic_pk_add_f16 v92, v77, s[8:9] offset:256       // 000000009164: DD388100 00084D5C
	s_setvskip 0, 0                                            // 00000000916C: BF108080
	s_setvskip s20, 7                                          // 000000009170: BF108714
	global_atomic_pk_add_f16 v94, v78, s[8:9]                  // 000000009174: DD388000 00084E5E
	s_setvskip 0, 0                                            // 00000000917C: BF108080
	s_setvskip s20, 7                                          // 000000009180: BF108714
	global_atomic_pk_add_f16 v94, v79, s[8:9] offset:256       // 000000009184: DD388100 00084F5E
	s_setvskip 0, 0                                            // 00000000918C: BF108080
	s_add_u32 s8, s59, s8                                      // 000000009190: 8008083B
	s_addc_u32 s9, 0, s9                                       // 000000009194: 82090980
	s_addk_i32 s80, 0x100                                      // 000000009198: B7500100
	s_cmp_lt_i32 s80, s81                                      // 00000000919C: BF045150
	s_cbranch_scc0 label_0E9D                                  // 0000000091A0: BF84F5B4
	s_waitcnt vmcnt(17) lgkmcnt(0)                             // 0000000091A4: BF8C4071
	s_barrier                                                  // 0000000091A8: BF8A0000
	v_mfma_f32_16x16x32_fp8_fp8 v[200:203], a[80:81], v[128:129], 0// 0000000091AC: D3F300C8 0A030150
	buffer_load_dwordx4 a[0:3], v39, s[12:15], 0 offen         // 0000000091B4: E05C1000 80830027
	v_mfma_f32_16x16x32_fp8_fp8 v[200:203], a[82:83], v[130:131], v[200:203]// 0000000091BC: D3F300C8 0F230552
	ds_read_b32 v64, v4 offset:36096                           // 0000000091C4: D86C8D00 40000004
	ds_read_b32 v65, v4 offset:40448                           // 0000000091CC: D86C9E00 41000004
	v_mfma_f32_16x16x32_fp8_fp8 v[204:207], a[80:81], v[148:149], 0// 0000000091D4: D3F300CC 0A032950
	v_mfma_f32_16x16x32_fp8_fp8 v[204:207], a[82:83], v[150:151], v[204:207]// 0000000091DC: D3F300CC 0F332D52
	ds_read_b32 v66, v4 offset:36128                           // 0000000091E4: D86C8D20 42000004
	ds_read_b32 v67, v4 offset:40480                           // 0000000091EC: D86C9E20 43000004
	v_mfma_f32_16x16x32_fp8_fp8 v[208:211], a[84:85], v[128:129], 0// 0000000091F4: D3F300D0 0A030154
	buffer_load_dwordx4 a[4:7], v40, s[12:15], 0 offen         // 0000000091FC: E05C1000 80830428
	v_mfma_f32_16x16x32_fp8_fp8 v[208:211], a[86:87], v[130:131], v[208:211]// 000000009204: D3F300D0 0F430556
	ds_read_b32 v68, v4 offset:36160                           // 00000000920C: D86C8D40 44000004
	ds_read_b32 v69, v4 offset:40512                           // 000000009214: D86C9E40 45000004
	v_mfma_f32_16x16x32_fp8_fp8 v[212:215], a[84:85], v[148:149], 0// 00000000921C: D3F300D4 0A032954
	v_mfma_f32_16x16x32_fp8_fp8 v[212:215], a[86:87], v[150:151], v[212:215]// 000000009224: D3F300D4 0F532D56
	ds_read_b32 v70, v4 offset:36192                           // 00000000922C: D86C8D60 46000004
	ds_read_b32 v71, v4 offset:40544                           // 000000009234: D86C9E60 47000004
	v_mfma_f32_16x16x32_fp8_fp8 v[216:219], a[88:89], v[128:129], 0// 00000000923C: D3F300D8 0A030158
	buffer_load_dwordx4 a[8:11], v41, s[12:15], 0 offen        // 000000009244: E05C1000 80830829
	v_mfma_f32_16x16x32_fp8_fp8 v[216:219], a[90:91], v[130:131], v[216:219]// 00000000924C: D3F300D8 0F63055A
	ds_read_b32 v72, v4 offset:44800                           // 000000009254: D86CAF00 48000004
	ds_read_b32 v73, v4 offset:49152                           // 00000000925C: D86CC000 49000004
	v_mfma_f32_16x16x32_fp8_fp8 v[220:223], a[88:89], v[148:149], 0// 000000009264: D3F300DC 0A032958
	v_mfma_f32_16x16x32_fp8_fp8 v[220:223], a[90:91], v[150:151], v[220:223]// 00000000926C: D3F300DC 0F732D5A
	ds_read_b32 v74, v4 offset:44832                           // 000000009274: D86CAF20 4A000004
	ds_read_b32 v75, v4 offset:49184                           // 00000000927C: D86CC020 4B000004
	v_mfma_f32_16x16x32_fp8_fp8 v[224:227], a[92:93], v[128:129], 0// 000000009284: D3F300E0 0A03015C
	buffer_load_dwordx4 a[12:15], v42, s[12:15], 0 offen       // 00000000928C: E05C1000 80830C2A
	s_add_u32 s12, s78, s12                                    // 000000009294: 800C0C4E
	s_addc_u32 s13, 0, s13                                     // 000000009298: 820D0D80
	v_mfma_f32_16x16x32_fp8_fp8 v[224:227], a[94:95], v[130:131], v[224:227]// 00000000929C: D3F300E0 0F83055E
	ds_read_b32 v76, v4 offset:44864                           // 0000000092A4: D86CAF40 4C000004
	ds_read_b32 v77, v4 offset:49216                           // 0000000092AC: D86CC040 4D000004
	v_mfma_f32_16x16x32_fp8_fp8 v[228:231], a[92:93], v[148:149], 0// 0000000092B4: D3F300E4 0A03295C
	v_mfma_f32_16x16x32_fp8_fp8 v[228:231], a[94:95], v[150:151], v[228:231]// 0000000092BC: D3F300E4 0F932D5E
	ds_read_b32 v78, v4 offset:44896                           // 0000000092C4: D86CAF60 4E000004
	ds_read_b32 v79, v4 offset:49248                           // 0000000092CC: D86CC060 4F000004
	s_waitcnt vmcnt(17)                                        // 0000000092D4: BF8C4F71
	v_mfma_f32_16x16x32_fp8_fp8 v[200:203], a[96:97], v[132:133], v[200:203]// 0000000092D8: D3F300C8 0F230960
	buffer_load_dwordx4 a[16:19], v39, s[12:15], 0 offen       // 0000000092E0: E05C1000 80831027
	v_mfma_f32_16x16x32_fp8_fp8 v[200:203], a[98:99], v[134:135], v[200:203]// 0000000092E8: D3F300C8 0F230D62
	v_mfma_f32_16x16x32_fp8_fp8 v[204:207], a[96:97], v[152:153], v[204:207]// 0000000092F0: D3F300CC 0F333160
	v_mfma_f32_16x16x32_fp8_fp8 v[204:207], a[98:99], v[154:155], v[204:207]// 0000000092F8: D3F300CC 0F333562
	v_mfma_f32_16x16x32_fp8_fp8 v[208:211], a[100:101], v[132:133], v[208:211]// 000000009300: D3F300D0 0F430964
	buffer_load_dwordx4 a[20:23], v40, s[12:15], 0 offen       // 000000009308: E05C1000 80831428
	v_mfma_f32_16x16x32_fp8_fp8 v[208:211], a[102:103], v[134:135], v[208:211]// 000000009310: D3F300D0 0F430D66
	v_mfma_f32_16x16x32_fp8_fp8 v[212:215], a[100:101], v[152:153], v[212:215]// 000000009318: D3F300D4 0F533164
	v_mfma_f32_16x16x32_fp8_fp8 v[212:215], a[102:103], v[154:155], v[212:215]// 000000009320: D3F300D4 0F533566
	v_mfma_f32_16x16x32_fp8_fp8 v[216:219], a[104:105], v[132:133], v[216:219]// 000000009328: D3F300D8 0F630968
	buffer_load_dwordx4 a[24:27], v41, s[12:15], 0 offen       // 000000009330: E05C1000 80831829
	v_mfma_f32_16x16x32_fp8_fp8 v[216:219], a[106:107], v[134:135], v[216:219]// 000000009338: D3F300D8 0F630D6A
	v_mfma_f32_16x16x32_fp8_fp8 v[220:223], a[104:105], v[152:153], v[220:223]// 000000009340: D3F300DC 0F733168
	v_mfma_f32_16x16x32_fp8_fp8 v[220:223], a[106:107], v[154:155], v[220:223]// 000000009348: D3F300DC 0F73356A
	v_mfma_f32_16x16x32_fp8_fp8 v[224:227], a[108:109], v[132:133], v[224:227]// 000000009350: D3F300E0 0F83096C
	buffer_load_dwordx4 a[28:31], v42, s[12:15], 0 offen       // 000000009358: E05C1000 80831C2A
	s_add_u32 s12, s78, s12                                    // 000000009360: 800C0C4E
	s_addc_u32 s13, 0, s13                                     // 000000009364: 820D0D80
	v_mfma_f32_16x16x32_fp8_fp8 v[224:227], a[110:111], v[134:135], v[224:227]// 000000009368: D3F300E0 0F830D6E
	v_mfma_f32_16x16x32_fp8_fp8 v[228:231], a[108:109], v[152:153], v[228:231]// 000000009370: D3F300E4 0F93316C
	v_mfma_f32_16x16x32_fp8_fp8 v[228:231], a[110:111], v[154:155], v[228:231]// 000000009378: D3F300E4 0F93356E
	s_waitcnt vmcnt(17)                                        // 000000009380: BF8C4F71
	v_mfma_f32_16x16x32_fp8_fp8 v[200:203], a[112:113], v[136:137], v[200:203]// 000000009384: D3F300C8 0F231170
	buffer_load_dwordx4 a[32:35], v39, s[12:15], 0 offen       // 00000000938C: E05C1000 80832027
	v_mfma_f32_16x16x32_fp8_fp8 v[200:203], a[114:115], v[138:139], v[200:203]// 000000009394: D3F300C8 0F231572
	ds_write_b64 v3, v[168:169] offset:18688                   // 00000000939C: D89A4900 0000A803
	v_mfma_f32_16x16x32_fp8_fp8 v[204:207], a[112:113], v[156:157], v[204:207]// 0000000093A4: D3F300CC 0F333970
	v_mfma_f32_16x16x32_fp8_fp8 v[204:207], a[114:115], v[158:159], v[204:207]// 0000000093AC: D3F300CC 0F333D72
	ds_write_b64 v3, v[170:171] offset:27392                   // 0000000093B4: D89A6B00 0000AA03
	v_mfma_f32_16x16x32_fp8_fp8 v[208:211], a[116:117], v[136:137], v[208:211]// 0000000093BC: D3F300D0 0F431174
	buffer_load_dwordx4 a[36:39], v40, s[12:15], 0 offen       // 0000000093C4: E05C1000 80832428
	v_mfma_f32_16x16x32_fp8_fp8 v[208:211], a[118:119], v[138:139], v[208:211]// 0000000093CC: D3F300D0 0F431576
	ds_write_b64 v3, v[172:173] offset:20864                   // 0000000093D4: D89A5180 0000AC03
	v_mfma_f32_16x16x32_fp8_fp8 v[212:215], a[116:117], v[156:157], v[212:215]// 0000000093DC: D3F300D4 0F533974
	v_mfma_f32_16x16x32_fp8_fp8 v[212:215], a[118:119], v[158:159], v[212:215]// 0000000093E4: D3F300D4 0F533D76
	ds_write_b64 v3, v[174:175] offset:29568                   // 0000000093EC: D89A7380 0000AE03
	v_mfma_f32_16x16x32_fp8_fp8 v[216:219], a[120:121], v[136:137], v[216:219]// 0000000093F4: D3F300D8 0F631178
	buffer_load_dwordx4 a[40:43], v41, s[12:15], 0 offen       // 0000000093FC: E05C1000 80832829
	v_mfma_f32_16x16x32_fp8_fp8 v[216:219], a[122:123], v[138:139], v[216:219]// 000000009404: D3F300D8 0F63157A
	ds_write_b64 v3, v[176:177] offset:23040                   // 00000000940C: D89A5A00 0000B003
	v_mfma_f32_16x16x32_fp8_fp8 v[220:223], a[120:121], v[156:157], v[220:223]// 000000009414: D3F300DC 0F733978
	v_mfma_f32_16x16x32_fp8_fp8 v[220:223], a[122:123], v[158:159], v[220:223]// 00000000941C: D3F300DC 0F733D7A
	ds_write_b64 v3, v[178:179] offset:31744                   // 000000009424: D89A7C00 0000B203
	v_mfma_f32_16x16x32_fp8_fp8 v[224:227], a[124:125], v[136:137], v[224:227]// 00000000942C: D3F300E0 0F83117C
	buffer_load_dwordx4 a[44:47], v42, s[12:15], 0 offen       // 000000009434: E05C1000 80832C2A
	s_add_u32 s12, s78, s12                                    // 00000000943C: 800C0C4E
	s_addc_u32 s13, 0, s13                                     // 000000009440: 820D0D80
	v_mfma_f32_16x16x32_fp8_fp8 v[224:227], a[126:127], v[138:139], v[224:227]// 000000009444: D3F300E0 0F83157E
	ds_write_b64 v3, v[180:181] offset:25216                   // 00000000944C: D89A6280 0000B403
	v_mfma_f32_16x16x32_fp8_fp8 v[228:231], a[124:125], v[156:157], v[228:231]// 000000009454: D3F300E4 0F93397C
	v_mfma_f32_16x16x32_fp8_fp8 v[228:231], a[126:127], v[158:159], v[228:231]// 00000000945C: D3F300E4 0F933D7E
	ds_write_b64 v3, v[182:183] offset:33920                   // 000000009464: D89A8480 0000B603
	s_waitcnt vmcnt(17)                                        // 00000000946C: BF8C4F71
	v_mfma_f32_16x16x32_fp8_fp8 v[200:203], a[128:129], v[140:141], v[200:203]// 000000009470: D3F300C8 0F231980
	buffer_load_dwordx4 a[48:51], v39, s[12:15], 0 offen       // 000000009478: E05C1000 80833027
	v_mfma_f32_16x16x32_fp8_fp8 v[200:203], a[130:131], v[142:143], v[200:203]// 000000009480: D3F300C8 0F231D82
	v_mfma_f32_16x16x32_fp8_fp8 v[204:207], a[128:129], v[160:161], v[204:207]// 000000009488: D3F300CC 0F334180
	v_mfma_f32_16x16x32_fp8_fp8 v[204:207], a[130:131], v[162:163], v[204:207]// 000000009490: D3F300CC 0F334582
	v_mfma_f32_16x16x32_fp8_fp8 v[208:211], a[132:133], v[140:141], v[208:211]// 000000009498: D3F300D0 0F431984
	buffer_load_dwordx4 a[52:55], v40, s[12:15], 0 offen       // 0000000094A0: E05C1000 80833428
	v_mfma_f32_16x16x32_fp8_fp8 v[208:211], a[134:135], v[142:143], v[208:211]// 0000000094A8: D3F300D0 0F431D86
	v_mfma_f32_16x16x32_fp8_fp8 v[212:215], a[132:133], v[160:161], v[212:215]// 0000000094B0: D3F300D4 0F534184
	v_mfma_f32_16x16x32_fp8_fp8 v[212:215], a[134:135], v[162:163], v[212:215]// 0000000094B8: D3F300D4 0F534586
	v_mfma_f32_16x16x32_fp8_fp8 v[216:219], a[136:137], v[140:141], v[216:219]// 0000000094C0: D3F300D8 0F631988
	buffer_load_dwordx4 a[56:59], v41, s[12:15], 0 offen       // 0000000094C8: E05C1000 80833829
	v_mfma_f32_16x16x32_fp8_fp8 v[216:219], a[138:139], v[142:143], v[216:219]// 0000000094D0: D3F300D8 0F631D8A
	v_mfma_f32_16x16x32_fp8_fp8 v[220:223], a[136:137], v[160:161], v[220:223]// 0000000094D8: D3F300DC 0F734188
	v_mfma_f32_16x16x32_fp8_fp8 v[220:223], a[138:139], v[162:163], v[220:223]// 0000000094E0: D3F300DC 0F73458A
	v_mfma_f32_16x16x32_fp8_fp8 v[224:227], a[140:141], v[140:141], v[224:227]// 0000000094E8: D3F300E0 0F83198C
	buffer_load_dwordx4 a[60:63], v42, s[12:15], 0 offen       // 0000000094F0: E05C1000 80833C2A
	s_add_u32 s12, s78, s12                                    // 0000000094F8: 800C0C4E
	s_addc_u32 s13, 0, s13                                     // 0000000094FC: 820D0D80
	v_mfma_f32_16x16x32_fp8_fp8 v[224:227], a[142:143], v[142:143], v[224:227]// 000000009500: D3F300E0 0F831D8E
	v_mfma_f32_16x16x32_fp8_fp8 v[228:231], a[140:141], v[160:161], v[228:231]// 000000009508: D3F300E4 0F93418C
	v_mfma_f32_16x16x32_fp8_fp8 v[228:231], a[142:143], v[162:163], v[228:231]// 000000009510: D3F300E4 0F93458E
	s_waitcnt vmcnt(16)                                        // 000000009518: BF8C4F70
	v_mfma_f32_16x16x32_fp8_fp8 v[200:203], a[144:145], v[144:145], v[200:203]// 00000000951C: D3F300C8 0F232190
	buffer_load_dwordx4 a[64:67], v39, s[12:15], 0 offen       // 000000009524: E05C1000 80834027
	v_mfma_f32_16x16x32_fp8_fp8 v[200:203], a[146:147], v[146:147], v[200:203]// 00000000952C: D3F300C8 0F232592
	v_mfma_f32_16x16x32_fp8_fp8 v[204:207], a[144:145], v[164:165], v[204:207]// 000000009534: D3F300CC 0F334990
	buffer_load_dword v12, v5, s[16:19], 0 offen               // 00000000953C: E0501000 80040C05
	v_mfma_f32_16x16x32_fp8_fp8 v[204:207], a[146:147], v[166:167], v[204:207]// 000000009544: D3F300CC 0F334D92
	v_mfma_f32_16x16x32_fp8_fp8 v[208:211], a[148:149], v[144:145], v[208:211]// 00000000954C: D3F300D0 0F432194
	buffer_load_dwordx4 a[68:71], v40, s[12:15], 0 offen       // 000000009554: E05C1000 80834428
	v_mfma_f32_16x16x32_fp8_fp8 v[208:211], a[150:151], v[146:147], v[208:211]// 00000000955C: D3F300D0 0F432596
	v_mfma_f32_16x16x32_fp8_fp8 v[212:215], a[148:149], v[164:165], v[212:215]// 000000009564: D3F300D4 0F534994
	v_mfma_f32_16x16x32_fp8_fp8 v[212:215], a[150:151], v[166:167], v[212:215]// 00000000956C: D3F300D4 0F534D96
	v_mfma_f32_16x16x32_fp8_fp8 v[216:219], a[152:153], v[144:145], v[216:219]// 000000009574: D3F300D8 0F632198
	buffer_load_dwordx4 a[72:75], v41, s[12:15], 0 offen       // 00000000957C: E05C1000 80834829
	v_mfma_f32_16x16x32_fp8_fp8 v[216:219], a[154:155], v[146:147], v[216:219]// 000000009584: D3F300D8 0F63259A
	v_mfma_f32_16x16x32_fp8_fp8 v[220:223], a[152:153], v[164:165], v[220:223]// 00000000958C: D3F300DC 0F734998
	v_mfma_f32_16x16x32_fp8_fp8 v[220:223], a[154:155], v[166:167], v[220:223]// 000000009594: D3F300DC 0F734D9A
	v_mfma_f32_16x16x32_fp8_fp8 v[224:227], a[156:157], v[144:145], v[224:227]// 00000000959C: D3F300E0 0F83219C
	buffer_load_dwordx4 a[76:79], v42, s[12:15], 0 offen       // 0000000095A4: E05C1000 80834C2A
	v_mfma_f32_16x16x32_fp8_fp8 v[224:227], a[158:159], v[146:147], v[224:227]// 0000000095AC: D3F300E0 0F83259E
	v_mfma_f32_16x16x32_fp8_fp8 v[228:231], a[156:157], v[164:165], v[228:231]// 0000000095B4: D3F300E4 0F93499C
	v_mfma_f32_16x16x32_fp8_fp8 v[228:231], a[158:159], v[166:167], v[228:231]// 0000000095BC: D3F300E4 0F934D9E
	s_add_u32 s60, 0x200, s80                                  // 0000000095C4: 803C50FF 00000200
	s_cmp_lt_u32 s60, s81                                      // 0000000095CC: BF0A513C
	s_cselect_b32 s56, s56, 0                                  // 0000000095D0: 85388038
	s_cselect_b32 s78, s78, 0                                  // 0000000095D4: 854E804E
	s_cselect_b32 s79, s79, 0                                  // 0000000095D8: 854F804F
	s_add_u32 s12, s56, s12                                    // 0000000095DC: 800C0C38
	s_addc_u32 s13, 0, s13                                     // 0000000095E0: 820D0D80
	s_add_u32 s16, s79, s16                                    // 0000000095E4: 8010104F
	s_addc_u32 s17, 0, s17                                     // 0000000095E8: 82111180
	v_mul_f32_e32 v200, v24, v200                              // 0000000095EC: 0B919118
	v_mul_f32_e32 v201, v24, v201                              // 0000000095F0: 0B939318
	v_mul_f32_e32 v202, v24, v202                              // 0000000095F4: 0B959518
	v_mul_f32_e32 v203, v24, v203                              // 0000000095F8: 0B979718
	v_mul_f32_dpp v200, v13, v200 row_newbcast:0 row_mask:0xf bank_mask:0xf// 0000000095FC: 0B9190FA FF01500D
	v_mul_f32_dpp v201, v13, v201 row_newbcast:1 row_mask:0xf bank_mask:0xf// 000000009604: 0B9392FA FF01510D
	v_mul_f32_dpp v202, v13, v202 row_newbcast:2 row_mask:0xf bank_mask:0xf// 00000000960C: 0B9594FA FF01520D
	v_mul_f32_dpp v203, v13, v203 row_newbcast:3 row_mask:0xf bank_mask:0xf// 000000009614: 0B9796FA FF01530D
	v_mul_f32_e32 v200, v20, v200                              // 00000000961C: 0B919114
	v_mul_f32_e32 v201, v20, v201                              // 000000009620: 0B939314
	v_mul_f32_e32 v202, v20, v202                              // 000000009624: 0B959514
	v_mul_f32_e32 v203, v20, v203                              // 000000009628: 0B979714
	v_mul_f32_e32 v204, v25, v204                              // 00000000962C: 0B999919
	v_mul_f32_e32 v205, v25, v205                              // 000000009630: 0B9B9B19
	v_mul_f32_e32 v206, v25, v206                              // 000000009634: 0B9D9D19
	v_mul_f32_e32 v207, v25, v207                              // 000000009638: 0B9F9F19
	v_mul_f32_dpp v204, v13, v204 row_newbcast:0 row_mask:0xf bank_mask:0xf// 00000000963C: 0B9998FA FF01500D
	v_mul_f32_dpp v205, v13, v205 row_newbcast:1 row_mask:0xf bank_mask:0xf// 000000009644: 0B9B9AFA FF01510D
	v_mul_f32_dpp v206, v13, v206 row_newbcast:2 row_mask:0xf bank_mask:0xf// 00000000964C: 0B9D9CFA FF01520D
	v_mul_f32_dpp v207, v13, v207 row_newbcast:3 row_mask:0xf bank_mask:0xf// 000000009654: 0B9F9EFA FF01530D
	v_mul_f32_e32 v204, v21, v204                              // 00000000965C: 0B999915
	v_mul_f32_e32 v205, v21, v205                              // 000000009660: 0B9B9B15
	v_mul_f32_e32 v206, v21, v206                              // 000000009664: 0B9D9D15
	v_mul_f32_e32 v207, v21, v207                              // 000000009668: 0B9F9F15
	v_mul_f32_e32 v208, v24, v208                              // 00000000966C: 0BA1A118
	v_mul_f32_e32 v209, v24, v209                              // 000000009670: 0BA3A318
	v_mul_f32_e32 v210, v24, v210                              // 000000009674: 0BA5A518
	v_mul_f32_e32 v211, v24, v211                              // 000000009678: 0BA7A718
	v_mul_f32_dpp v208, v13, v208 row_newbcast:4 row_mask:0xf bank_mask:0xf// 00000000967C: 0BA1A0FA FF01540D
	v_mul_f32_dpp v209, v13, v209 row_newbcast:5 row_mask:0xf bank_mask:0xf// 000000009684: 0BA3A2FA FF01550D
	v_mul_f32_dpp v210, v13, v210 row_newbcast:6 row_mask:0xf bank_mask:0xf// 00000000968C: 0BA5A4FA FF01560D
	v_mul_f32_dpp v211, v13, v211 row_newbcast:7 row_mask:0xf bank_mask:0xf// 000000009694: 0BA7A6FA FF01570D
	v_mul_f32_e32 v208, v20, v208                              // 00000000969C: 0BA1A114
	v_mul_f32_e32 v209, v20, v209                              // 0000000096A0: 0BA3A314
	v_mul_f32_e32 v210, v20, v210                              // 0000000096A4: 0BA5A514
	v_mul_f32_e32 v211, v20, v211                              // 0000000096A8: 0BA7A714
	v_mul_f32_e32 v212, v25, v212                              // 0000000096AC: 0BA9A919
	v_mul_f32_e32 v213, v25, v213                              // 0000000096B0: 0BABAB19
	v_mul_f32_e32 v214, v25, v214                              // 0000000096B4: 0BADAD19
	v_mul_f32_e32 v215, v25, v215                              // 0000000096B8: 0BAFAF19
	v_mul_f32_dpp v212, v13, v212 row_newbcast:4 row_mask:0xf bank_mask:0xf// 0000000096BC: 0BA9A8FA FF01540D
	v_mul_f32_dpp v213, v13, v213 row_newbcast:5 row_mask:0xf bank_mask:0xf// 0000000096C4: 0BABAAFA FF01550D
	v_mul_f32_dpp v214, v13, v214 row_newbcast:6 row_mask:0xf bank_mask:0xf// 0000000096CC: 0BADACFA FF01560D
	v_mul_f32_dpp v215, v13, v215 row_newbcast:7 row_mask:0xf bank_mask:0xf// 0000000096D4: 0BAFAEFA FF01570D
	v_mul_f32_e32 v212, v21, v212                              // 0000000096DC: 0BA9A915
	v_mul_f32_e32 v213, v21, v213                              // 0000000096E0: 0BABAB15
	v_mul_f32_e32 v214, v21, v214                              // 0000000096E4: 0BADAD15
	v_mul_f32_e32 v215, v21, v215                              // 0000000096E8: 0BAFAF15
	v_mul_f32_e32 v216, v24, v216                              // 0000000096EC: 0BB1B118
	v_mul_f32_e32 v217, v24, v217                              // 0000000096F0: 0BB3B318
	v_mul_f32_e32 v218, v24, v218                              // 0000000096F4: 0BB5B518
	v_mul_f32_e32 v219, v24, v219                              // 0000000096F8: 0BB7B718
	v_mul_f32_dpp v216, v13, v216 row_newbcast:8 row_mask:0xf bank_mask:0xf// 0000000096FC: 0BB1B0FA FF01580D
	v_mul_f32_dpp v217, v13, v217 row_newbcast:9 row_mask:0xf bank_mask:0xf// 000000009704: 0BB3B2FA FF01590D
	v_mul_f32_dpp v218, v13, v218 row_newbcast:10 row_mask:0xf bank_mask:0xf// 00000000970C: 0BB5B4FA FF015A0D
	v_mul_f32_dpp v219, v13, v219 row_newbcast:11 row_mask:0xf bank_mask:0xf// 000000009714: 0BB7B6FA FF015B0D
	v_mul_f32_e32 v216, v20, v216                              // 00000000971C: 0BB1B114
	v_mul_f32_e32 v217, v20, v217                              // 000000009720: 0BB3B314
	v_mul_f32_e32 v218, v20, v218                              // 000000009724: 0BB5B514
	v_mul_f32_e32 v219, v20, v219                              // 000000009728: 0BB7B714
	v_mul_f32_e32 v220, v25, v220                              // 00000000972C: 0BB9B919
	v_mul_f32_e32 v221, v25, v221                              // 000000009730: 0BBBBB19
	v_mul_f32_e32 v222, v25, v222                              // 000000009734: 0BBDBD19
	v_mul_f32_e32 v223, v25, v223                              // 000000009738: 0BBFBF19
	v_mul_f32_dpp v220, v13, v220 row_newbcast:8 row_mask:0xf bank_mask:0xf// 00000000973C: 0BB9B8FA FF01580D
	v_mul_f32_dpp v221, v13, v221 row_newbcast:9 row_mask:0xf bank_mask:0xf// 000000009744: 0BBBBAFA FF01590D
	v_mul_f32_dpp v222, v13, v222 row_newbcast:10 row_mask:0xf bank_mask:0xf// 00000000974C: 0BBDBCFA FF015A0D
	v_mul_f32_dpp v223, v13, v223 row_newbcast:11 row_mask:0xf bank_mask:0xf// 000000009754: 0BBFBEFA FF015B0D
	v_mul_f32_e32 v220, v21, v220                              // 00000000975C: 0BB9B915
	v_mul_f32_e32 v221, v21, v221                              // 000000009760: 0BBBBB15
	v_mul_f32_e32 v222, v21, v222                              // 000000009764: 0BBDBD15
	v_mul_f32_e32 v223, v21, v223                              // 000000009768: 0BBFBF15
	v_mul_f32_e32 v224, v24, v224                              // 00000000976C: 0BC1C118
	v_mul_f32_e32 v225, v24, v225                              // 000000009770: 0BC3C318
	v_mul_f32_e32 v226, v24, v226                              // 000000009774: 0BC5C518
	v_mul_f32_e32 v227, v24, v227                              // 000000009778: 0BC7C718
	v_mul_f32_dpp v224, v13, v224 row_newbcast:12 row_mask:0xf bank_mask:0xf// 00000000977C: 0BC1C0FA FF015C0D
	v_mul_f32_dpp v225, v13, v225 row_newbcast:13 row_mask:0xf bank_mask:0xf// 000000009784: 0BC3C2FA FF015D0D
	v_mul_f32_dpp v226, v13, v226 row_newbcast:14 row_mask:0xf bank_mask:0xf// 00000000978C: 0BC5C4FA FF015E0D
	v_mul_f32_dpp v227, v13, v227 row_newbcast:15 row_mask:0xf bank_mask:0xf// 000000009794: 0BC7C6FA FF015F0D
	v_mul_f32_e32 v224, v20, v224                              // 00000000979C: 0BC1C114
	v_mul_f32_e32 v225, v20, v225                              // 0000000097A0: 0BC3C314
	v_mul_f32_e32 v226, v20, v226                              // 0000000097A4: 0BC5C514
	v_mul_f32_e32 v227, v20, v227                              // 0000000097A8: 0BC7C714
	v_mul_f32_e32 v228, v25, v228                              // 0000000097AC: 0BC9C919
	v_mul_f32_e32 v229, v25, v229                              // 0000000097B0: 0BCBCB19
	v_mul_f32_e32 v230, v25, v230                              // 0000000097B4: 0BCDCD19
	v_mul_f32_e32 v231, v25, v231                              // 0000000097B8: 0BCFCF19
	v_mul_f32_dpp v228, v13, v228 row_newbcast:12 row_mask:0xf bank_mask:0xf// 0000000097BC: 0BC9C8FA FF015C0D
	v_mul_f32_dpp v229, v13, v229 row_newbcast:13 row_mask:0xf bank_mask:0xf// 0000000097C4: 0BCBCAFA FF015D0D
	v_mul_f32_dpp v230, v13, v230 row_newbcast:14 row_mask:0xf bank_mask:0xf// 0000000097CC: 0BCDCCFA FF015E0D
	v_mul_f32_dpp v231, v13, v231 row_newbcast:15 row_mask:0xf bank_mask:0xf// 0000000097D4: 0BCFCEFA FF015F0D
	v_mul_f32_e32 v228, v21, v228                              // 0000000097DC: 0BC9C915
	v_mul_f32_e32 v229, v21, v229                              // 0000000097E0: 0BCBCB15
	v_mul_f32_e32 v230, v21, v230                              // 0000000097E4: 0BCDCD15
	v_mul_f32_e32 v231, v21, v231                              // 0000000097E8: 0BCFCF15
	v_cvt_pkrtz_f16_f32 v200, v200, v201                       // 0000000097EC: D29600C8 000393C8
	v_cvt_pkrtz_f16_f32 v201, v202, v203                       // 0000000097F4: D29600C9 000397CA
	v_cvt_pkrtz_f16_f32 v202, v204, v205                       // 0000000097FC: D29600CA 00039BCC
	v_cvt_pkrtz_f16_f32 v203, v206, v207                       // 000000009804: D29600CB 00039FCE
	v_cvt_pkrtz_f16_f32 v204, v208, v209                       // 00000000980C: D29600CC 0003A3D0
	v_cvt_pkrtz_f16_f32 v205, v210, v211                       // 000000009814: D29600CD 0003A7D2
	v_cvt_pkrtz_f16_f32 v206, v212, v213                       // 00000000981C: D29600CE 0003ABD4
	v_cvt_pkrtz_f16_f32 v207, v214, v215                       // 000000009824: D29600CF 0003AFD6
	v_cvt_pkrtz_f16_f32 v208, v216, v217                       // 00000000982C: D29600D0 0003B3D8
	v_cvt_pkrtz_f16_f32 v209, v218, v219                       // 000000009834: D29600D1 0003B7DA
	v_cvt_pkrtz_f16_f32 v210, v220, v221                       // 00000000983C: D29600D2 0003BBDC
	v_cvt_pkrtz_f16_f32 v211, v222, v223                       // 000000009844: D29600D3 0003BFDE
	v_cvt_pkrtz_f16_f32 v212, v224, v225                       // 00000000984C: D29600D4 0003C3E0
	v_cvt_pkrtz_f16_f32 v213, v226, v227                       // 000000009854: D29600D5 0003C7E2
	v_cvt_pkrtz_f16_f32 v214, v228, v229                       // 00000000985C: D29600D6 0003CBE4
	v_cvt_pkrtz_f16_f32 v215, v230, v231                       // 000000009864: D29600D7 0003CFE6
	s_cmp_ge_u32 s80, 0x200                                    // 00000000986C: BF09FF50 00000200
	s_cselect_b32 s59, 0x200, s59                              // 000000009874: 853B3BFF 00000200
	s_setvskip s20, 0                                          // 00000000987C: BF108014
	global_atomic_pk_add_f16 v80, v64, s[8:9]                  // 000000009880: DD388000 00084050
	s_setvskip 0, 0                                            // 000000009888: BF108080
	s_setvskip s20, 0                                          // 00000000988C: BF108014
	global_atomic_pk_add_f16 v80, v65, s[8:9] offset:256       // 000000009890: DD388100 00084150
	s_setvskip 0, 0                                            // 000000009898: BF108080
	s_setvskip s20, 1                                          // 00000000989C: BF108114
	global_atomic_pk_add_f16 v82, v66, s[8:9]                  // 0000000098A0: DD388000 00084252
	s_setvskip 0, 0                                            // 0000000098A8: BF108080
	s_setvskip s20, 1                                          // 0000000098AC: BF108114
	global_atomic_pk_add_f16 v82, v67, s[8:9] offset:256       // 0000000098B0: DD388100 00084352
	s_setvskip 0, 0                                            // 0000000098B8: BF108080
	s_setvskip s20, 2                                          // 0000000098BC: BF108214
	global_atomic_pk_add_f16 v84, v68, s[8:9]                  // 0000000098C0: DD388000 00084454
	s_setvskip 0, 0                                            // 0000000098C8: BF108080
	s_setvskip s20, 2                                          // 0000000098CC: BF108214
	global_atomic_pk_add_f16 v84, v69, s[8:9] offset:256       // 0000000098D0: DD388100 00084554
	s_setvskip 0, 0                                            // 0000000098D8: BF108080
	s_setvskip s20, 3                                          // 0000000098DC: BF108314
	global_atomic_pk_add_f16 v86, v70, s[8:9]                  // 0000000098E0: DD388000 00084656
	s_setvskip 0, 0                                            // 0000000098E8: BF108080
	s_setvskip s20, 3                                          // 0000000098EC: BF108314
	global_atomic_pk_add_f16 v86, v71, s[8:9] offset:256       // 0000000098F0: DD388100 00084756
	s_setvskip 0, 0                                            // 0000000098F8: BF108080
	s_setvskip s20, 4                                          // 0000000098FC: BF108414
	global_atomic_pk_add_f16 v88, v72, s[8:9]                  // 000000009900: DD388000 00084858
	s_setvskip 0, 0                                            // 000000009908: BF108080
	s_setvskip s20, 4                                          // 00000000990C: BF108414
	global_atomic_pk_add_f16 v88, v73, s[8:9] offset:256       // 000000009910: DD388100 00084958
	s_setvskip 0, 0                                            // 000000009918: BF108080
	s_setvskip s20, 5                                          // 00000000991C: BF108514
	global_atomic_pk_add_f16 v90, v74, s[8:9]                  // 000000009920: DD388000 00084A5A
	s_setvskip 0, 0                                            // 000000009928: BF108080
	s_setvskip s20, 5                                          // 00000000992C: BF108514
	global_atomic_pk_add_f16 v90, v75, s[8:9] offset:256       // 000000009930: DD388100 00084B5A
	s_setvskip 0, 0                                            // 000000009938: BF108080
	s_setvskip s20, 6                                          // 00000000993C: BF108614
	global_atomic_pk_add_f16 v92, v76, s[8:9]                  // 000000009940: DD388000 00084C5C
	s_setvskip 0, 0                                            // 000000009948: BF108080
	s_setvskip s20, 6                                          // 00000000994C: BF108614
	global_atomic_pk_add_f16 v92, v77, s[8:9] offset:256       // 000000009950: DD388100 00084D5C
	s_setvskip 0, 0                                            // 000000009958: BF108080
	s_setvskip s20, 7                                          // 00000000995C: BF108714
	global_atomic_pk_add_f16 v94, v78, s[8:9]                  // 000000009960: DD388000 00084E5E
	s_setvskip 0, 0                                            // 000000009968: BF108080
	s_setvskip s20, 7                                          // 00000000996C: BF108714
	global_atomic_pk_add_f16 v94, v79, s[8:9] offset:256       // 000000009970: DD388100 00084F5E
	s_setvskip 0, 0                                            // 000000009978: BF108080
	s_add_u32 s8, s59, s8                                      // 00000000997C: 8008083B
	s_addc_u32 s9, 0, s9                                       // 000000009980: 82090980
	s_addk_i32 s80, 0x100                                      // 000000009984: B7500100
	s_cmp_lt_i32 s80, s81                                      // 000000009988: BF045150
	s_cbranch_scc0 label_0E9D                                  // 00000000998C: BF84F3B9
	s_branch label_16EE                                        // 000000009990: BF82FC09

0000000000009994 <label_1AE5>:
	s_cmp_ge_u32 s59, 0                                        // 000000009994: BF09803B
	s_cselect_b32 s59, 0x200, s59                              // 000000009998: 853B3BFF 00000200
	s_waitcnt lgkmcnt(0)                                       // 0000000099A0: BF8CC07F
	s_barrier                                                  // 0000000099A4: BF8A0000
	s_cmp_eq_u32 s64, 0x100                                    // 0000000099A8: BF06FF40 00000100
	s_cbranch_scc0 label_1B61                                  // 0000000099B0: BF840074
	ds_write_b64 v3, v[168:169] offset:18688                   // 0000000099B4: D89A4900 0000A803
	ds_write_b64 v3, v[170:171] offset:27392                   // 0000000099BC: D89A6B00 0000AA03
	ds_write_b64 v3, v[172:173] offset:20864                   // 0000000099C4: D89A5180 0000AC03
	ds_write_b64 v3, v[174:175] offset:29568                   // 0000000099CC: D89A7380 0000AE03
	ds_write_b64 v3, v[176:177] offset:23040                   // 0000000099D4: D89A5A00 0000B003
	ds_write_b64 v3, v[178:179] offset:31744                   // 0000000099DC: D89A7C00 0000B203
	ds_write_b64 v3, v[180:181] offset:25216                   // 0000000099E4: D89A6280 0000B403
	ds_write_b64 v3, v[182:183] offset:33920                   // 0000000099EC: D89A8480 0000B603
	s_waitcnt lgkmcnt(0)                                       // 0000000099F4: BF8CC07F
	s_barrier                                                  // 0000000099F8: BF8A0000
	ds_read_b32 v64, v4 offset:18688                           // 0000000099FC: D86C4900 40000004
	ds_read_b32 v65, v4 offset:23040                           // 000000009A04: D86C5A00 41000004
	ds_read_b32 v66, v4 offset:18720                           // 000000009A0C: D86C4920 42000004
	ds_read_b32 v67, v4 offset:23072                           // 000000009A14: D86C5A20 43000004
	ds_read_b32 v68, v4 offset:18752                           // 000000009A1C: D86C4940 44000004
	ds_read_b32 v69, v4 offset:23104                           // 000000009A24: D86C5A40 45000004
	ds_read_b32 v70, v4 offset:18784                           // 000000009A2C: D86C4960 46000004
	ds_read_b32 v71, v4 offset:23136                           // 000000009A34: D86C5A60 47000004
	ds_read_b32 v72, v4 offset:27392                           // 000000009A3C: D86C6B00 48000004
	ds_read_b32 v73, v4 offset:31744                           // 000000009A44: D86C7C00 49000004
	ds_read_b32 v74, v4 offset:27424                           // 000000009A4C: D86C6B20 4A000004
	ds_read_b32 v75, v4 offset:31776                           // 000000009A54: D86C7C20 4B000004
	ds_read_b32 v76, v4 offset:27456                           // 000000009A5C: D86C6B40 4C000004
	ds_read_b32 v77, v4 offset:31808                           // 000000009A64: D86C7C40 4D000004
	ds_read_b32 v78, v4 offset:27488                           // 000000009A6C: D86C6B60 4E000004
	ds_read_b32 v79, v4 offset:31840                           // 000000009A74: D86C7C60 4F000004
	s_waitcnt lgkmcnt(0)                                       // 000000009A7C: BF8CC07F
	s_setvskip s20, 0                                          // 000000009A80: BF108014
	global_atomic_pk_add_f16 v80, v64, s[8:9]                  // 000000009A84: DD388000 00084050
	s_setvskip 0, 0                                            // 000000009A8C: BF108080
	s_setvskip s20, 0                                          // 000000009A90: BF108014
	global_atomic_pk_add_f16 v80, v65, s[8:9] offset:256       // 000000009A94: DD388100 00084150
	s_setvskip 0, 0                                            // 000000009A9C: BF108080
	s_setvskip s20, 1                                          // 000000009AA0: BF108114
	global_atomic_pk_add_f16 v82, v66, s[8:9]                  // 000000009AA4: DD388000 00084252
	s_setvskip 0, 0                                            // 000000009AAC: BF108080
	s_setvskip s20, 1                                          // 000000009AB0: BF108114
	global_atomic_pk_add_f16 v82, v67, s[8:9] offset:256       // 000000009AB4: DD388100 00084352
	s_setvskip 0, 0                                            // 000000009ABC: BF108080
	s_setvskip s20, 2                                          // 000000009AC0: BF108214
	global_atomic_pk_add_f16 v84, v68, s[8:9]                  // 000000009AC4: DD388000 00084454
	s_setvskip 0, 0                                            // 000000009ACC: BF108080
	s_setvskip s20, 2                                          // 000000009AD0: BF108214
	global_atomic_pk_add_f16 v84, v69, s[8:9] offset:256       // 000000009AD4: DD388100 00084554
	s_setvskip 0, 0                                            // 000000009ADC: BF108080
	s_setvskip s20, 3                                          // 000000009AE0: BF108314
	global_atomic_pk_add_f16 v86, v70, s[8:9]                  // 000000009AE4: DD388000 00084656
	s_setvskip 0, 0                                            // 000000009AEC: BF108080
	s_setvskip s20, 3                                          // 000000009AF0: BF108314
	global_atomic_pk_add_f16 v86, v71, s[8:9] offset:256       // 000000009AF4: DD388100 00084756
	s_setvskip 0, 0                                            // 000000009AFC: BF108080
	s_setvskip s20, 4                                          // 000000009B00: BF108414
	global_atomic_pk_add_f16 v88, v72, s[8:9]                  // 000000009B04: DD388000 00084858
	s_setvskip 0, 0                                            // 000000009B0C: BF108080
	s_setvskip s20, 4                                          // 000000009B10: BF108414
	global_atomic_pk_add_f16 v88, v73, s[8:9] offset:256       // 000000009B14: DD388100 00084958
	s_setvskip 0, 0                                            // 000000009B1C: BF108080
	s_setvskip s20, 5                                          // 000000009B20: BF108514
	global_atomic_pk_add_f16 v90, v74, s[8:9]                  // 000000009B24: DD388000 00084A5A
	s_setvskip 0, 0                                            // 000000009B2C: BF108080
	s_setvskip s20, 5                                          // 000000009B30: BF108514
	global_atomic_pk_add_f16 v90, v75, s[8:9] offset:256       // 000000009B34: DD388100 00084B5A
	s_setvskip 0, 0                                            // 000000009B3C: BF108080
	s_setvskip s20, 6                                          // 000000009B40: BF108614
	global_atomic_pk_add_f16 v92, v76, s[8:9]                  // 000000009B44: DD388000 00084C5C
	s_setvskip 0, 0                                            // 000000009B4C: BF108080
	s_setvskip s20, 6                                          // 000000009B50: BF108614
	global_atomic_pk_add_f16 v92, v77, s[8:9] offset:256       // 000000009B54: DD388100 00084D5C
	s_setvskip 0, 0                                            // 000000009B5C: BF108080
	s_setvskip s20, 7                                          // 000000009B60: BF108714
	global_atomic_pk_add_f16 v94, v78, s[8:9]                  // 000000009B64: DD388000 00084E5E
	s_setvskip 0, 0                                            // 000000009B6C: BF108080
	s_setvskip s20, 7                                          // 000000009B70: BF108714
	global_atomic_pk_add_f16 v94, v79, s[8:9] offset:256       // 000000009B74: DD388100 00084F5E
	s_setvskip 0, 0                                            // 000000009B7C: BF108080
	s_branch label_1C37                                        // 000000009B80: BF8200D6

0000000000009b84 <label_1B61>:
	ds_read_b32 v64, v4 offset:18688                           // 000000009B84: D86C4900 40000004
	ds_read_b32 v65, v4 offset:23040                           // 000000009B8C: D86C5A00 41000004
	ds_read_b32 v66, v4 offset:18720                           // 000000009B94: D86C4920 42000004
	ds_read_b32 v67, v4 offset:23072                           // 000000009B9C: D86C5A20 43000004
	ds_read_b32 v68, v4 offset:18752                           // 000000009BA4: D86C4940 44000004
	ds_read_b32 v69, v4 offset:23104                           // 000000009BAC: D86C5A40 45000004
	ds_read_b32 v70, v4 offset:18784                           // 000000009BB4: D86C4960 46000004
	ds_read_b32 v71, v4 offset:23136                           // 000000009BBC: D86C5A60 47000004
	ds_read_b32 v72, v4 offset:27392                           // 000000009BC4: D86C6B00 48000004
	ds_read_b32 v73, v4 offset:31744                           // 000000009BCC: D86C7C00 49000004
	ds_read_b32 v74, v4 offset:27424                           // 000000009BD4: D86C6B20 4A000004
	ds_read_b32 v75, v4 offset:31776                           // 000000009BDC: D86C7C20 4B000004
	ds_read_b32 v76, v4 offset:27456                           // 000000009BE4: D86C6B40 4C000004
	ds_read_b32 v77, v4 offset:31808                           // 000000009BEC: D86C7C40 4D000004
	ds_read_b32 v78, v4 offset:27488                           // 000000009BF4: D86C6B60 4E000004
	ds_read_b32 v79, v4 offset:31840                           // 000000009BFC: D86C7C60 4F000004
	s_waitcnt lgkmcnt(0)                                       // 000000009C04: BF8CC07F
	s_setvskip s20, 0                                          // 000000009C08: BF108014
	global_atomic_pk_add_f16 v80, v64, s[8:9]                  // 000000009C0C: DD388000 00084050
	s_setvskip 0, 0                                            // 000000009C14: BF108080
	s_setvskip s20, 0                                          // 000000009C18: BF108014
	global_atomic_pk_add_f16 v80, v65, s[8:9] offset:256       // 000000009C1C: DD388100 00084150
	s_setvskip 0, 0                                            // 000000009C24: BF108080
	s_setvskip s20, 1                                          // 000000009C28: BF108114
	global_atomic_pk_add_f16 v82, v66, s[8:9]                  // 000000009C2C: DD388000 00084252
	s_setvskip 0, 0                                            // 000000009C34: BF108080
	s_setvskip s20, 1                                          // 000000009C38: BF108114
	global_atomic_pk_add_f16 v82, v67, s[8:9] offset:256       // 000000009C3C: DD388100 00084352
	s_setvskip 0, 0                                            // 000000009C44: BF108080
	s_setvskip s20, 2                                          // 000000009C48: BF108214
	global_atomic_pk_add_f16 v84, v68, s[8:9]                  // 000000009C4C: DD388000 00084454
	s_setvskip 0, 0                                            // 000000009C54: BF108080
	s_setvskip s20, 2                                          // 000000009C58: BF108214
	global_atomic_pk_add_f16 v84, v69, s[8:9] offset:256       // 000000009C5C: DD388100 00084554
	s_setvskip 0, 0                                            // 000000009C64: BF108080
	s_setvskip s20, 3                                          // 000000009C68: BF108314
	global_atomic_pk_add_f16 v86, v70, s[8:9]                  // 000000009C6C: DD388000 00084656
	s_setvskip 0, 0                                            // 000000009C74: BF108080
	s_setvskip s20, 3                                          // 000000009C78: BF108314
	global_atomic_pk_add_f16 v86, v71, s[8:9] offset:256       // 000000009C7C: DD388100 00084756
	s_setvskip 0, 0                                            // 000000009C84: BF108080
	s_setvskip s20, 4                                          // 000000009C88: BF108414
	global_atomic_pk_add_f16 v88, v72, s[8:9]                  // 000000009C8C: DD388000 00084858
	s_setvskip 0, 0                                            // 000000009C94: BF108080
	s_setvskip s20, 4                                          // 000000009C98: BF108414
	global_atomic_pk_add_f16 v88, v73, s[8:9] offset:256       // 000000009C9C: DD388100 00084958
	s_setvskip 0, 0                                            // 000000009CA4: BF108080
	s_setvskip s20, 5                                          // 000000009CA8: BF108514
	global_atomic_pk_add_f16 v90, v74, s[8:9]                  // 000000009CAC: DD388000 00084A5A
	s_setvskip 0, 0                                            // 000000009CB4: BF108080
	s_setvskip s20, 5                                          // 000000009CB8: BF108514
	global_atomic_pk_add_f16 v90, v75, s[8:9] offset:256       // 000000009CBC: DD388100 00084B5A
	s_setvskip 0, 0                                            // 000000009CC4: BF108080
	s_setvskip s20, 6                                          // 000000009CC8: BF108614
	global_atomic_pk_add_f16 v92, v76, s[8:9]                  // 000000009CCC: DD388000 00084C5C
	s_setvskip 0, 0                                            // 000000009CD4: BF108080
	s_setvskip s20, 6                                          // 000000009CD8: BF108614
	global_atomic_pk_add_f16 v92, v77, s[8:9] offset:256       // 000000009CDC: DD388100 00084D5C
	s_setvskip 0, 0                                            // 000000009CE4: BF108080
	s_setvskip s20, 7                                          // 000000009CE8: BF108714
	global_atomic_pk_add_f16 v94, v78, s[8:9]                  // 000000009CEC: DD388000 00084E5E
	s_setvskip 0, 0                                            // 000000009CF4: BF108080
	s_setvskip s20, 7                                          // 000000009CF8: BF108714
	global_atomic_pk_add_f16 v94, v79, s[8:9] offset:256       // 000000009CFC: DD388100 00084F5E
	s_setvskip 0, 0                                            // 000000009D04: BF108080
	s_add_u32 s8, s59, s8                                      // 000000009D08: 8008083B
	s_addc_u32 s9, 0, s9                                       // 000000009D0C: 82090980
	ds_write_b64 v3, v[200:201] offset:36096                   // 000000009D10: D89A8D00 0000C803
	ds_write_b64 v3, v[202:203] offset:44800                   // 000000009D18: D89AAF00 0000CA03
	ds_write_b64 v3, v[204:205] offset:38272                   // 000000009D20: D89A9580 0000CC03
	ds_write_b64 v3, v[206:207] offset:46976                   // 000000009D28: D89AB780 0000CE03
	ds_write_b64 v3, v[208:209] offset:40448                   // 000000009D30: D89A9E00 0000D003
	ds_write_b64 v3, v[210:211] offset:49152                   // 000000009D38: D89AC000 0000D203
	ds_write_b64 v3, v[212:213] offset:42624                   // 000000009D40: D89AA680 0000D403
	ds_write_b64 v3, v[214:215] offset:51328                   // 000000009D48: D89AC880 0000D603
	s_waitcnt lgkmcnt(0)                                       // 000000009D50: BF8CC07F
	s_barrier                                                  // 000000009D54: BF8A0000
	ds_read_b32 v64, v4 offset:36096                           // 000000009D58: D86C8D00 40000004
	ds_read_b32 v65, v4 offset:40448                           // 000000009D60: D86C9E00 41000004
	ds_read_b32 v66, v4 offset:36128                           // 000000009D68: D86C8D20 42000004
	ds_read_b32 v67, v4 offset:40480                           // 000000009D70: D86C9E20 43000004
	ds_read_b32 v68, v4 offset:36160                           // 000000009D78: D86C8D40 44000004
	ds_read_b32 v69, v4 offset:40512                           // 000000009D80: D86C9E40 45000004
	ds_read_b32 v70, v4 offset:36192                           // 000000009D88: D86C8D60 46000004
	ds_read_b32 v71, v4 offset:40544                           // 000000009D90: D86C9E60 47000004
	ds_read_b32 v72, v4 offset:44800                           // 000000009D98: D86CAF00 48000004
	ds_read_b32 v73, v4 offset:49152                           // 000000009DA0: D86CC000 49000004
	ds_read_b32 v74, v4 offset:44832                           // 000000009DA8: D86CAF20 4A000004
	ds_read_b32 v75, v4 offset:49184                           // 000000009DB0: D86CC020 4B000004
	ds_read_b32 v76, v4 offset:44864                           // 000000009DB8: D86CAF40 4C000004
	ds_read_b32 v77, v4 offset:49216                           // 000000009DC0: D86CC040 4D000004
	ds_read_b32 v78, v4 offset:44896                           // 000000009DC8: D86CAF60 4E000004
	ds_read_b32 v79, v4 offset:49248                           // 000000009DD0: D86CC060 4F000004
	s_waitcnt lgkmcnt(0)                                       // 000000009DD8: BF8CC07F
	s_setvskip s20, 0                                          // 000000009DDC: BF108014
	global_atomic_pk_add_f16 v80, v64, s[8:9]                  // 000000009DE0: DD388000 00084050
	s_setvskip 0, 0                                            // 000000009DE8: BF108080
	s_setvskip s20, 0                                          // 000000009DEC: BF108014
	global_atomic_pk_add_f16 v80, v65, s[8:9] offset:256       // 000000009DF0: DD388100 00084150
	s_setvskip 0, 0                                            // 000000009DF8: BF108080
	s_setvskip s20, 1                                          // 000000009DFC: BF108114
	global_atomic_pk_add_f16 v82, v66, s[8:9]                  // 000000009E00: DD388000 00084252
	s_setvskip 0, 0                                            // 000000009E08: BF108080
	s_setvskip s20, 1                                          // 000000009E0C: BF108114
	global_atomic_pk_add_f16 v82, v67, s[8:9] offset:256       // 000000009E10: DD388100 00084352
	s_setvskip 0, 0                                            // 000000009E18: BF108080
	s_setvskip s20, 2                                          // 000000009E1C: BF108214
	global_atomic_pk_add_f16 v84, v68, s[8:9]                  // 000000009E20: DD388000 00084454
	s_setvskip 0, 0                                            // 000000009E28: BF108080
	s_setvskip s20, 2                                          // 000000009E2C: BF108214
	global_atomic_pk_add_f16 v84, v69, s[8:9] offset:256       // 000000009E30: DD388100 00084554
	s_setvskip 0, 0                                            // 000000009E38: BF108080
	s_setvskip s20, 3                                          // 000000009E3C: BF108314
	global_atomic_pk_add_f16 v86, v70, s[8:9]                  // 000000009E40: DD388000 00084656
	s_setvskip 0, 0                                            // 000000009E48: BF108080
	s_setvskip s20, 3                                          // 000000009E4C: BF108314
	global_atomic_pk_add_f16 v86, v71, s[8:9] offset:256       // 000000009E50: DD388100 00084756
	s_setvskip 0, 0                                            // 000000009E58: BF108080
	s_setvskip s20, 4                                          // 000000009E5C: BF108414
	global_atomic_pk_add_f16 v88, v72, s[8:9]                  // 000000009E60: DD388000 00084858
	s_setvskip 0, 0                                            // 000000009E68: BF108080
	s_setvskip s20, 4                                          // 000000009E6C: BF108414
	global_atomic_pk_add_f16 v88, v73, s[8:9] offset:256       // 000000009E70: DD388100 00084958
	s_setvskip 0, 0                                            // 000000009E78: BF108080
	s_setvskip s20, 5                                          // 000000009E7C: BF108514
	global_atomic_pk_add_f16 v90, v74, s[8:9]                  // 000000009E80: DD388000 00084A5A
	s_setvskip 0, 0                                            // 000000009E88: BF108080
	s_setvskip s20, 5                                          // 000000009E8C: BF108514
	global_atomic_pk_add_f16 v90, v75, s[8:9] offset:256       // 000000009E90: DD388100 00084B5A
	s_setvskip 0, 0                                            // 000000009E98: BF108080
	s_setvskip s20, 6                                          // 000000009E9C: BF108614
	global_atomic_pk_add_f16 v92, v76, s[8:9]                  // 000000009EA0: DD388000 00084C5C
	s_setvskip 0, 0                                            // 000000009EA8: BF108080
	s_setvskip s20, 6                                          // 000000009EAC: BF108614
	global_atomic_pk_add_f16 v92, v77, s[8:9] offset:256       // 000000009EB0: DD388100 00084D5C
	s_setvskip 0, 0                                            // 000000009EB8: BF108080
	s_setvskip s20, 7                                          // 000000009EBC: BF108714
	global_atomic_pk_add_f16 v94, v78, s[8:9]                  // 000000009EC0: DD388000 00084E5E
	s_setvskip 0, 0                                            // 000000009EC8: BF108080
	s_setvskip s20, 7                                          // 000000009ECC: BF108714
	global_atomic_pk_add_f16 v94, v79, s[8:9] offset:256       // 000000009ED0: DD388100 00084F5E
	s_setvskip 0, 0                                            // 000000009ED8: BF108080

0000000000009edc <label_1C37>:
	s_waitcnt vmcnt(0) expcnt(0) lgkmcnt(0)                    // 000000009EDC: BF8C0000
	s_endpgm                                                   // 000000009EE0: BF810000
